;; amdgpu-corpus repo=ROCm/Tensile kind=harvested arch=n/a opt=n/a

/******************************************/
/* Function Prefix                        */
/******************************************/



/******************************************/
/* Begin Kernel                           */
/******************************************/

// Component.Signature.SignatureDefault
.amdgcn_target "amdgcn-amd-amdhsa--gfx908"
.text
.protected Cijk_Ailk_Bjlk_HSS_BH_MT256x256x16_MI32x32x8x1_SN_1LDSB0_APM1_AF0EM8_AF1EM1_AMAS3_ASE_ASAE01_ASCE01_ASEM1_BL1_DTLA0_DTLB0_DVO0_EPS1_FL0_GLVWA8_GLVWB8_GRVW8_GSU1_GSUASB_ISA908_IU1_K1_KLA_LBSPPA0_LBSPPB0_LPA0_LPB0_LDL1_LRVW4_LDW0_MAC_MDA2_MMFGLC_NTC0_NTD0_NEPBS0_NLCA1_NLCB1_ONLL1_OPLV0_PK0_PAP0_PGR1_PLR1_SIA3_SS1_SU32_SUM0_SUS128_SPO0_SRVW0_SSO0_SVW4_SNLL0_TT4_128_TLDS0_UMLDSA0_UMLDSB0_USFGROn1_VAW2_VSn1_VW4_VWB2_WSGRA1_WSGRB1_WG64_4_1_WGM4
.globl Cijk_Ailk_Bjlk_HSS_BH_MT256x256x16_MI32x32x8x1_SN_1LDSB0_APM1_AF0EM8_AF1EM1_AMAS3_ASE_ASAE01_ASCE01_ASEM1_BL1_DTLA0_DTLB0_DVO0_EPS1_FL0_GLVWA8_GLVWB8_GRVW8_GSU1_GSUASB_ISA908_IU1_K1_KLA_LBSPPA0_LBSPPB0_LPA0_LPB0_LDL1_LRVW4_LDW0_MAC_MDA2_MMFGLC_NTC0_NTD0_NEPBS0_NLCA1_NLCB1_ONLL1_OPLV0_PK0_PAP0_PGR1_PLR1_SIA3_SS1_SU32_SUM0_SUS128_SPO0_SRVW0_SSO0_SVW4_SNLL0_TT4_128_TLDS0_UMLDSA0_UMLDSB0_USFGROn1_VAW2_VSn1_VW4_VWB2_WSGRA1_WSGRB1_WG64_4_1_WGM4
.p2align 8
.type Cijk_Ailk_Bjlk_HSS_BH_MT256x256x16_MI32x32x8x1_SN_1LDSB0_APM1_AF0EM8_AF1EM1_AMAS3_ASE_ASAE01_ASCE01_ASEM1_BL1_DTLA0_DTLB0_DVO0_EPS1_FL0_GLVWA8_GLVWB8_GRVW8_GSU1_GSUASB_ISA908_IU1_K1_KLA_LBSPPA0_LBSPPB0_LPA0_LPB0_LDL1_LRVW4_LDW0_MAC_MDA2_MMFGLC_NTC0_NTD0_NEPBS0_NLCA1_NLCB1_ONLL1_OPLV0_PK0_PAP0_PGR1_PLR1_SIA3_SS1_SU32_SUM0_SUS128_SPO0_SRVW0_SSO0_SVW4_SNLL0_TT4_128_TLDS0_UMLDSA0_UMLDSB0_USFGROn1_VAW2_VSn1_VW4_VWB2_WSGRA1_WSGRB1_WG64_4_1_WGM4,@function
.section .rodata,#alloc
.p2align 6
.amdhsa_kernel Cijk_Ailk_Bjlk_HSS_BH_MT256x256x16_MI32x32x8x1_SN_1LDSB0_APM1_AF0EM8_AF1EM1_AMAS3_ASE_ASAE01_ASCE01_ASEM1_BL1_DTLA0_DTLB0_DVO0_EPS1_FL0_GLVWA8_GLVWB8_GRVW8_GSU1_GSUASB_ISA908_IU1_K1_KLA_LBSPPA0_LBSPPB0_LPA0_LPB0_LDL1_LRVW4_LDW0_MAC_MDA2_MMFGLC_NTC0_NTD0_NEPBS0_NLCA1_NLCB1_ONLL1_OPLV0_PK0_PAP0_PGR1_PLR1_SIA3_SS1_SU32_SUM0_SUS128_SPO0_SRVW0_SSO0_SVW4_SNLL0_TT4_128_TLDS0_UMLDSA0_UMLDSB0_USFGROn1_VAW2_VSn1_VW4_VWB2_WSGRA1_WSGRB1_WG64_4_1_WGM4
  .amdhsa_user_sgpr_kernarg_segment_ptr 1
  .amdhsa_user_sgpr_count 2
  .amdhsa_next_free_vgpr 256 // vgprs
  .amdhsa_next_free_sgpr 63 // sgprs
  .amdhsa_group_segment_fixed_size 32768 // lds bytes
  .amdhsa_private_segment_fixed_size 0
  .amdhsa_system_sgpr_workgroup_id_x 1
  .amdhsa_system_sgpr_workgroup_id_y 1
  .amdhsa_system_sgpr_workgroup_id_z 1
  .amdhsa_system_vgpr_workitem_id 0
  .amdhsa_float_denorm_mode_32 3
  .amdhsa_float_denorm_mode_16_64 3
.end_amdhsa_kernel
.text

/******************************************/
/* Optimizations and Config:              */
/******************************************/
/* ThreadTile= 64 x 4 */
/* SubGroup= 4 x 64 */
/* VectorWidthA=4 */
/* VectorWidthB=2 */
/* GlobalLoadVectorWidthA=8, GlobalLoadVectorWidthB=8 */
/* DirectToLdsA=False */
/* DirectToLdsB=False */
/* UseSgprForGRO=False */
.amdgpu_metadata
---
amdhsa.version:
  - 1
  - 1
amdhsa.target: amdgcn-amd-amdhsa--gfx908
amdhsa.kernels:
  - .name: Cijk_Ailk_Bjlk_HSS_BH_MT256x256x16_MI32x32x8x1_SN_1LDSB0_APM1_AF0EM8_AF1EM1_AMAS3_ASE_ASAE01_ASCE01_ASEM1_BL1_DTLA0_DTLB0_DVO0_EPS1_FL0_GLVWA8_GLVWB8_GRVW8_GSU1_GSUASB_ISA908_IU1_K1_KLA_LBSPPA0_LBSPPB0_LPA0_LPB0_LDL1_LRVW4_LDW0_MAC_MDA2_MMFGLC_NTC0_NTD0_NEPBS0_NLCA1_NLCB1_ONLL1_OPLV0_PK0_PAP0_PGR1_PLR1_SIA3_SS1_SU32_SUM0_SUS128_SPO0_SRVW0_SSO0_SVW4_SNLL0_TT4_128_TLDS0_UMLDSA0_UMLDSB0_USFGROn1_VAW2_VSn1_VW4_VWB2_WSGRA1_WSGRB1_WG64_4_1_WGM4
    .symbol: 'Cijk_Ailk_Bjlk_HSS_BH_MT256x256x16_MI32x32x8x1_SN_1LDSB0_APM1_AF0EM8_AF1EM1_AMAS3_ASE_ASAE01_ASCE01_ASEM1_BL1_DTLA0_DTLB0_DVO0_EPS1_FL0_GLVWA8_GLVWB8_GRVW8_GSU1_GSUASB_ISA908_IU1_K1_KLA_LBSPPA0_LBSPPB0_LPA0_LPB0_LDL1_LRVW4_LDW0_MAC_MDA2_MMFGLC_NTC0_NTD0_NEPBS0_NLCA1_NLCB1_ONLL1_OPLV0_PK0_PAP0_PGR1_PLR1_SIA3_SS1_SU32_SUM0_SUS128_SPO0_SRVW0_SSO0_SVW4_SNLL0_TT4_128_TLDS0_UMLDSA0_UMLDSB0_USFGROn1_VAW2_VSn1_VW4_VWB2_WSGRA1_WSGRB1_WG64_4_1_WGM4.kd'
    .language:                   OpenCL C
    .language_version:
      - 2
      - 0
    .args:
      - .name:            Tensor2dSizeA
        .size:            8
        .offset:          0
        .value_kind:      by_value
        .value_type:      u64
      - .name:            Tensor2dSizeB
        .size:            8
        .offset:          8
        .value_kind:      by_value
        .value_type:      u64
      - .name:            AddressD
        .size:            8
        .offset:          16
        .value_kind:      by_value
        .value_type:      u64
      - .name:            AddressC
        .size:            8
        .offset:          24
        .value_kind:      by_value
        .value_type:      u64
      - .name:            AddressA
        .size:            8
        .offset:          32
        .value_kind:      by_value
        .value_type:      u64
      - .name:            AddressB
        .size:            8
        .offset:          40
        .value_kind:      by_value
        .value_type:      u64
      - .name:            Alpha
        .size:            4
        .offset:          48
        .value_kind:      by_value
        .value_type:      u32
      - .name:            Beta
        .size:            4
        .offset:          52
        .value_kind:      by_value
        .value_type:      u32
      - .name:            StridesD
        .size:            8
        .offset:          56
        .value_kind:      by_value
        .value_type:      u64
      - .name:            StridesC
        .size:            8
        .offset:          64
        .value_kind:      by_value
        .value_type:      u64
      - .name:            StridesA
        .size:            8
        .offset:          72
        .value_kind:      by_value
        .value_type:      u64
      - .name:            StridesB
        .size:            8
        .offset:          80
        .value_kind:      by_value
        .value_type:      u64
      - .name:            SizesFree
        .size:            12
        .offset:          88
        .value_kind:      by_value
        .value_type:      u96
      - .name:            SizesSum
        .size:            4
        .offset:          100
        .value_kind:      by_value
        .value_type:      u32
      - .name:            OrigStaggerUIter
        .size:            4
        .offset:          104
        .value_kind:      by_value
        .value_type:      u32
      - .name:            NumWorkGroups0
        .size:            4
        .offset:          108
        .value_kind:      by_value
        .value_type:      u32
      - .name:            NumWorkGroups1
        .size:            4
        .offset:          112
        .value_kind:      by_value
        .value_type:      u32
      - .name:            NumFullBlocks
        .size:            4
        .offset:          116
        .value_kind:      by_value
        .value_type:      u32
      - .name:            WgmRemainder1
        .size:            4
        .offset:          120
        .value_kind:      by_value
        .value_type:      u32
      - .name:            MagicNumberWgmRemainder1
        .size:            4
        .offset:          124
        .value_kind:      by_value
        .value_type:      u32
    .group_segment_fixed_size:   32768
    .kernarg_segment_align:      8
    .kernarg_segment_size:       128
    .max_flat_workgroup_size:    256
    .private_segment_fixed_size: 0
    .sgpr_count:                 63
    .sgpr_spill_count:           0
    .vgpr_count:                 256
    .vgpr_spill_count:           0
    .wavefront_size:             64
...
.end_amdgpu_metadata
Cijk_Ailk_Bjlk_HSS_BH_MT256x256x16_MI32x32x8x1_SN_1LDSB0_APM1_AF0EM8_AF1EM1_AMAS3_ASE_ASAE01_ASCE01_ASEM1_BL1_DTLA0_DTLB0_DVO0_EPS1_FL0_GLVWA8_GLVWB8_GRVW8_GSU1_GSUASB_ISA908_IU1_K1_KLA_LBSPPA0_LBSPPB0_LPA0_LPB0_LDL1_LRVW4_LDW0_MAC_MDA2_MMFGLC_NTC0_NTD0_NEPBS0_NLCA1_NLCB1_ONLL1_OPLV0_PK0_PAP0_PGR1_PLR1_SIA3_SS1_SU32_SUM0_SUS128_SPO0_SRVW0_SSO0_SVW4_SNLL0_TT4_128_TLDS0_UMLDSA0_UMLDSB0_USFGROn1_VAW2_VSn1_VW4_VWB2_WSGRA1_WSGRB1_WG64_4_1_WGM4:

/******************************************/
/* Asm syntax workarounds                 */
/******************************************/
.macro _v_add_co_u32 dst:req, cc:req, src0:req, src1:req, dpp=
   v_add_co_u32 \dst, \cc, \src0, \src1 \dpp
.endm

.macro _v_add_u32 dst:req, src0:req, src1:req, dpp=
   v_add_u32 \dst, \src0, \src1 \dpp
.endm

.macro _v_add_i32 dst:req, src0:req, src1:req, dpp=
   v_add_i32 \dst, \src0, \src1 \dpp
.endm

.macro _v_addc_co_u32 dst:req, ccOut:req, src0:req, ccIn:req, src1:req, dpp=
   v_addc_co_u32 \dst, \ccOut, \src0, \ccIn, \src1 \dpp
.endm

.macro _v_sub_co_u32 dst:req, cc:req, src0:req, src1:req, dpp=
   v_sub_co_u32 \dst, \cc, \src0, \src1 \dpp
.endm

.macro _v_sub_u32 dst:req, src0:req, src1:req, dpp=
   v_sub_u32 \dst, \src0, \src1 \dpp
.endm

.macro _v_sub_i32 dst:req, src0:req, src1:req, dpp=
   v_sub_i32 \dst, \src0, \src1 \dpp
.endm

.macro _v_add_lshl_u32 dst:req, src0:req, src1:req, shiftCnt:req
    v_add_lshl_u32 \dst, \src0, \src1, \shiftCnt
.endm

.macro _v_lshl_add_u32 dst:req, src0:req, src1:req, shiftCnt:req
    v_lshl_add_u32 \dst, \src0, \src1, \shiftCnt
.endm

.macro _v_lshl_or_b32 dst:req, src0:req, shiftCnt:req, src1:req
    v_lshl_or_b32 \dst, \src0, \shiftCnt, \src1
.endm

.macro _v_dot2acc_f32_f16 dst, src0, src1
v_dot2c_f32_f16 \dst, \src0, \src1
.endm

.macro _v_cmpx_lt_i16 dst, src0, src1=
   v_cmpx_lt_i16 \dst, \src0, \src1 
.endm

.macro _v_cmpx_lt_i32 dst, src0, src1=
   v_cmpx_lt_i32 \dst, \src0, \src1 
.endm

.macro _v_cmpx_lt_i64 dst, src0, src1=
   v_cmpx_lt_i64 \dst, \src0, \src1 
.endm

.macro _v_cmpx_lt_u16 dst, src0, src1=
   v_cmpx_lt_u16 \dst, \src0, \src1 
.endm

.macro _v_cmpx_lt_u32 dst, src0, src1=
   v_cmpx_lt_u32 \dst, \src0, \src1 
.endm

.macro _v_cmpx_lt_u64 dst, src0, src1=
   v_cmpx_lt_u64 \dst, \src0, \src1 
.endm

.macro _v_cmpx_eq_i16 dst, src0, src1=
   v_cmpx_eq_i16 \dst, \src0, \src1 
.endm

.macro _v_cmpx_eq_i32 dst, src0, src1=
   v_cmpx_eq_i32 \dst, \src0, \src1 
.endm

.macro _v_cmpx_eq_i64 dst, src0, src1=
   v_cmpx_eq_i64 \dst, \src0, \src1 
.endm

.macro _v_cmpx_eq_u16 dst, src0, src1=
   v_cmpx_eq_u16 \dst, \src0, \src1 
.endm

.macro _v_cmpx_eq_u32 dst, src0, src1=
   v_cmpx_eq_u32 \dst, \src0, \src1 
.endm

.macro _v_cmpx_eq_u64 dst, src0, src1=
   v_cmpx_eq_u64 \dst, \src0, \src1 
.endm

.macro _v_cmpx_le_i16 dst, src0, src1=
   v_cmpx_le_i16 \dst, \src0, \src1 
.endm

.macro _v_cmpx_le_i32 dst, src0, src1=
   v_cmpx_le_i32 \dst, \src0, \src1 
.endm

.macro _v_cmpx_le_i64 dst, src0, src1=
   v_cmpx_le_i64 \dst, \src0, \src1 
.endm

.macro _v_cmpx_le_u16 dst, src0, src1=
   v_cmpx_le_u16 \dst, \src0, \src1 
.endm

.macro _v_cmpx_le_u32 dst, src0, src1=
   v_cmpx_le_u32 \dst, \src0, \src1 
.endm

.macro _v_cmpx_le_u64 dst, src0, src1=
   v_cmpx_le_u64 \dst, \src0, \src1 
.endm

.macro _v_cmpx_gt_i16 dst, src0, src1=
   v_cmpx_gt_i16 \dst, \src0, \src1 
.endm

.macro _v_cmpx_gt_i32 dst, src0, src1=
   v_cmpx_gt_i32 \dst, \src0, \src1 
.endm

.macro _v_cmpx_gt_i64 dst, src0, src1=
   v_cmpx_gt_i64 \dst, \src0, \src1 
.endm

.macro _v_cmpx_gt_u16 dst, src0, src1=
   v_cmpx_gt_u16 \dst, \src0, \src1 
.endm

.macro _v_cmpx_gt_u32 dst, src0, src1=
   v_cmpx_gt_u32 \dst, \src0, \src1 
.endm

.macro _v_cmpx_gt_u64 dst, src0, src1=
   v_cmpx_gt_u64 \dst, \src0, \src1 
.endm

.macro _v_cmpx_ne_i16 dst, src0, src1=
   v_cmpx_ne_i16 \dst, \src0, \src1 
.endm

.macro _v_cmpx_ne_i32 dst, src0, src1=
   v_cmpx_ne_i32 \dst, \src0, \src1 
.endm

.macro _v_cmpx_ne_i64 dst, src0, src1=
   v_cmpx_ne_i64 \dst, \src0, \src1 
.endm

.macro _v_cmpx_ne_u16 dst, src0, src1=
   v_cmpx_ne_u16 \dst, \src0, \src1 
.endm

.macro _v_cmpx_ne_u32 dst, src0, src1=
   v_cmpx_ne_u32 \dst, \src0, \src1 
.endm

.macro _v_cmpx_ne_u64 dst, src0, src1=
   v_cmpx_ne_u64 \dst, \src0, \src1 
.endm

.macro _v_cmpx_lg_i16 dst, src0, src1=
   v_cmpx_lg_i16 \dst, \src0, \src1 
.endm

.macro _v_cmpx_lg_i32 dst, src0, src1=
   v_cmpx_lg_i32 \dst, \src0, \src1 
.endm

.macro _v_cmpx_lg_i64 dst, src0, src1=
   v_cmpx_lg_i64 \dst, \src0, \src1 
.endm

.macro _v_cmpx_lg_u16 dst, src0, src1=
   v_cmpx_lg_u16 \dst, \src0, \src1 
.endm

.macro _v_cmpx_lg_u32 dst, src0, src1=
   v_cmpx_lg_u32 \dst, \src0, \src1 
.endm

.macro _v_cmpx_lg_u64 dst, src0, src1=
   v_cmpx_lg_u64 \dst, \src0, \src1 
.endm

.macro _v_cmpx_ge_i16 dst, src0, src1=
   v_cmpx_ge_i16 \dst, \src0, \src1 
.endm

.macro _v_cmpx_ge_i32 dst, src0, src1=
   v_cmpx_ge_i32 \dst, \src0, \src1 
.endm

.macro _v_cmpx_ge_i64 dst, src0, src1=
   v_cmpx_ge_i64 \dst, \src0, \src1 
.endm

.macro _v_cmpx_ge_u16 dst, src0, src1=
   v_cmpx_ge_u16 \dst, \src0, \src1 
.endm

.macro _v_cmpx_ge_u32 dst, src0, src1=
   v_cmpx_ge_u32 \dst, \src0, \src1 
.endm

.macro _v_cmpx_ge_u64 dst, src0, src1=
   v_cmpx_ge_u64 \dst, \src0, \src1 
.endm

.macro _v_cmpx_o_i16 dst, src0, src1=
   v_cmpx_o_i16 \dst, \src0, \src1 
.endm

.macro _v_cmpx_o_i32 dst, src0, src1=
   v_cmpx_o_i32 \dst, \src0, \src1 
.endm

.macro _v_cmpx_o_i64 dst, src0, src1=
   v_cmpx_o_i64 \dst, \src0, \src1 
.endm

.macro _v_cmpx_o_u16 dst, src0, src1=
   v_cmpx_o_u16 \dst, \src0, \src1 
.endm

.macro _v_cmpx_o_u32 dst, src0, src1=
   v_cmpx_o_u32 \dst, \src0, \src1 
.endm

.macro _v_cmpx_o_u64 dst, src0, src1=
   v_cmpx_o_u64 \dst, \src0, \src1 
.endm

.macro _v_cmpx_u_i16 dst, src0, src1=
   v_cmpx_u_i16 \dst, \src0, \src1 
.endm

.macro _v_cmpx_u_i32 dst, src0, src1=
   v_cmpx_u_i32 \dst, \src0, \src1 
.endm

.macro _v_cmpx_u_i64 dst, src0, src1=
   v_cmpx_u_i64 \dst, \src0, \src1 
.endm

.macro _v_cmpx_u_u16 dst, src0, src1=
   v_cmpx_u_u16 \dst, \src0, \src1 
.endm

.macro _v_cmpx_u_u32 dst, src0, src1=
   v_cmpx_u_u32 \dst, \src0, \src1 
.endm

.macro _v_cmpx_u_u64 dst, src0, src1=
   v_cmpx_u_u64 \dst, \src0, \src1 
.endm
.macro _v_mac_f32 c:req, a:req, b:req
    v_mac_f32 \c, \a, \b
.endmacro

/* scale global load macros */
.macro _s_load_b32 dst base offset
    s_load_dword \dst \base \offset
.endm

.macro _s_load_b64 dst base offset
    s_load_dwordx2 \dst \base \offset
.endm

.macro _s_load_b128 dst base offset
    s_load_dwordx4 \dst \base \offset
.endm

.macro _s_load_b256 dst base offset
    s_load_dwordx8 \dst \base \offset
.endm

.macro _s_load_b512 dst base offset
    s_load_dwordx16 \dst \base \offset
.endm


/* ds operation macros */
.macro _ds_load_u8 dst src offset
    ds_read_u8 \dst \src \offset
.endm

.macro _ds_load_u8_d16_hi dst src offset
    ds_read_u8_d16_hi \dst \src \offset
.endm

.macro _ds_load_u16 dst src offset
    ds_read_u16 \dst \src \offset
.endm

.macro _ds_load_u16_d16_hi dst src offset
    ds_read_u16_d16_hi \dst \src \offset
.endm

.macro _ds_load_b32 dst src offset
    ds_read_b32 \dst \src \offset
.endm

.macro _ds_load_b64 dst src offset
    ds_read_b64 \dst \src \offset
.endm

.macro _ds_load_b128 dst src offset
    ds_read_b128 \dst \src \offset
.endm

.macro _ds_store_b8 dst src offset
    ds_write_b8 \dst \src \offset
.endm

.macro _ds_store_b8_d16_hi dst src offset
    ds_write_b8_d16_hi \dst \src \offset
.endm

.macro _ds_store_b16 dst src offset
    ds_write_b16 \dst \src \offset
.endm

.macro _ds_store_b16_d16_hi dst src offset
    ds_write_b16_d16_hi \dst \src \offset
.endm

.macro _ds_store_b32 dst src offset
    ds_write_b32 \dst \src \offset
.endm

.macro _ds_store_b64 dst src offset
    ds_write_b64 \dst \src \offset
.endm

.macro _ds_store_b128 dst src offset
    ds_write_b128 \dst \src \offset
.endm

.macro _ds_load2_b32 dst src offset1 offset2
    ds_read2_b32 \dst \src \offset1 \offset2
.endm

.macro _ds_load2_b64 dst src offset1 offset2
    ds_read2_b64 \dst \src \offset1 \offset2
.endm

.macro _ds_store2_b32 dst src offset1 offset2
    ds_write2_b32 \dst \src \offset1 \offset2
.endm

.macro _ds_store2_b64 dst src offset1 offset2
    ds_write2_b64 \dst \src \offset1 \offset2
.endm


/* buffer memory operation macros */
.macro _buffer_load_b32 dst voffset base soffset offen ioffset md0 md1 md2
    buffer_load_dword \dst \voffset \base \soffset \offen \ioffset \md0 \md1 \md2
.endm

.macro _buffer_load_b64 dst voffset base soffset offen ioffset md0 md1 md2
    buffer_load_dwordx2 \dst \voffset \base \soffset \offen \ioffset \md0 \md1 \md2
.endm

.macro _buffer_load_b96 dst voffset base soffset offen ioffset md0 md1 md2
    buffer_load_dwordx3 \dst \voffset \base \soffset \offen \ioffset \md0 \md1 \md2
.endm

.macro _buffer_load_b128 dst voffset base soffset offen ioffset md0 md1 md2
    buffer_load_dwordx4 \dst \voffset \base \soffset \offen \ioffset \md0 \md1 \md2
.endm

.macro _buffer_load_d16_b16 dst voffset base soffset offen ioffset md0 md1 md2
    buffer_load_short_d16 \dst \voffset \base \soffset \offen \ioffset \md0 \md1 \md2
.endm

.macro _buffer_load_d16_hi_b16 dst voffset base soffset offen ioffset md0 md1 md2
    buffer_load_short_d16_hi \dst \voffset \base \soffset \offen \ioffset \md0 \md1 \md2
.endm

.macro _buffer_load_d16_u8 dst voffset base soffset offen ioffset md0 md1 md2
    buffer_load_ubyte_d16 \dst \voffset \base \soffset \offen \ioffset \md0 \md1 \md2
.endm

.macro _buffer_load_d16_hi_u8 dst voffset base soffset offen ioffset md0 md1 md2
    buffer_load_ubyte_d16_hi \dst \voffset \base \soffset \offen \ioffset \md0 \md1 \md2
.endm

.macro _buffer_load_u16 dst voffset base soffset offen ioffset md0 md1 md2
    buffer_load_ushort \dst \voffset \base \soffset \offen \ioffset \md0 \md1 \md2
.endm

.macro _buffer_load_b32_dtl voffset base soffset offen ioffset md0 md1 md2
    buffer_load_dword \voffset \base \soffset \offen \ioffset \md0 \md1 \md2
.endm

.macro _buffer_load_b64_dtl voffset base soffset offen ioffset md0 md1 md2
    buffer_load_dwordx2 \voffset \base \soffset \offen \ioffset \md0 \md1 \md2
.endm

.macro _buffer_load_b128_dtl voffset base soffset offen ioffset md0 md1 md2
    buffer_load_dwordx4 \voffset \base \soffset \offen \ioffset \md0 \md1 \md2
.endm

.macro _buffer_load_u16_dtl voffset base soffset offen ioffset md0 md1 md2
    buffer_load_ushort \voffset \base \soffset \offen \ioffset \md0 \md1 \md2
.endm

.macro _buffer_store_b32 src voffset base soffset offen ioffset md0 md1 md2
    buffer_store_dword \src \voffset \base \soffset \offen \ioffset \md0 \md1 \md2
.endm

.macro _buffer_store_b64 src voffset base soffset offen ioffset md0 md1 md2
    buffer_store_dwordx2 \src \voffset \base \soffset \offen \ioffset \md0 \md1 \md2
.endm

.macro _buffer_store_b96 src voffset base soffset offen ioffset md0 md1 md2
    buffer_store_dwordx3 \src \voffset \base \soffset \offen \ioffset \md0 \md1 \md2
.endm

.macro _buffer_store_b128 src voffset base soffset offen ioffset md0 md1 md2
    buffer_store_dwordx4 \src \voffset \base \soffset \offen \ioffset \md0 \md1 \md2
.endm

.macro _buffer_store_b16 src voffset base soffset offen ioffset md0 md1 md2
    buffer_store_short \src \voffset \base \soffset \offen \ioffset \md0 \md1 \md2
.endm

.macro _buffer_store_d16_hi_b16 src voffset base soffset offen ioffset md0 md1 md2
    buffer_store_short_d16_hi \src \voffset \base \soffset \offen \ioffset \md0 \md1 \md2
.endm

.macro _buffer_store_b8 src voffset base soffset offen ioffset md0 md1 md2
    buffer_store_byte \src \voffset \base \soffset \offen \ioffset \md0 \md1 \md2
.endm

.macro _buffer_store_d16_hi_b8 src voffset base soffset offen ioffset md0 md1 md2
    buffer_store_byte_d16_hi \src \voffset \base \soffset \offen \ioffset \md0 \md1 \md2
.endm

.macro _buffer_atomic_cmpswap_b32 dst voffset base soffset offen ioffset md0 md1 md2
    buffer_atomic_cmpswap \dst \voffset \base \soffset \offen \ioffset \md0 \md1 \md2
.endm

.macro _buffer_atomic_cmpswap_b64 dst voffset base soffset offen ioffset md0 md1 md2
    buffer_atomic_cmpswap_x2 \dst \voffset \base \soffset \offen \ioffset \md0 \md1 \md2
.endm


/* buffer memory operation macros */
.macro _global_load_b32 dst base src ioffset md0 md1 md2
    global_load_dword \dst \base \src \ioffset \md0 \md1 \md2
.endm

.macro _global_load_b64 dst base src ioffset md0 md1 md2
    global_load_dwordx2 \dst \base \src \ioffset \md0 \md1 \md2
.endm

.macro _global_load_b96 dst base src ioffset md0 md1 md2
    global_load_dwordx3 \dst \base \src \ioffset \md0 \md1 \md2
.endm

.macro _global_load_b128 dst base src ioffset md0 md1 md2
    global_load_dwordx4 \dst \base \src \ioffset \md0 \md1 \md2
.endm

.macro _global_load_d16_b16 dst base src ioffset md0 md1 md2
    global_load_short_d16 \dst \base \src \ioffset \md0 \md1 \md2
.endm

.macro _global_load_d16_hi_b16 dst base src ioffset md0 md1 md2
    global_load_short_d16_hi \dst \base \src \ioffset \md0 \md1 \md2
.endm

.macro _global_load_d16_u8 dst base src ioffset md0 md1 md2
    global_load_ubyte_d16 \dst \base \src \ioffset \md0 \md1 \md2
.endm

.macro _global_load_d16_hi_u8 dst base src ioffset md0 md1 md2
    global_load_ubyte_d16_hi \dst \base \src \ioffset \md0 \md1 \md2
.endm

.macro _global_load_u16 dst base src ioffset md0 md1 md2
    global_load_ushort \dst \base \src \ioffset \md0 \md1 \md2
.endm

.macro _global_store_b32 base src src2 md0 md1 md2
    global_store_dword \base \src \src2 \md0 \md1 \md2
.endm

.macro _global_store_b64 base src src2 md0 md1 md2
    global_store_dwordx2 \base \src \src2 \md0 \md1 \md2
.endm

.macro _global_store_b96 base src src2 md0 md1 md2
    global_store_dwordx3 \base \src \src2 \md0 \md1 \md2
.endm

.macro _global_store_b128 base src src2 md0 md1 md2
    global_store_dwordx4 \base \src \src2 \md0 \md1 \md2
.endm

.macro _global_store_d16_b16 base src src2 md0 md1 md2
    global_store_short \base \src \src2 \md0 \md1 \md2
.endm

.macro _global_store_d16_hi_b16 base src src2 md0 md1 md2
    global_store_short_d16_hi \base \src \src2 \md0 \md1 \md2
.endm

.macro _global_store_d16_u8 base src src2 md0 md1 md2
    global_store_ubyte_d16 \base \src \src2 \md0 \md1 \md2
.endm

.macro _global_store_d16_hi_u8 base src src2 md0 md1 md2
    global_store_ubyte_d16_hi \base \src \src2 \md0 \md1 \md2
.endm

.macro _global_store_u16 base src src2 md0 md1 md2
    global_store_ushort \base \src \src2 \md0 \md1 \md2
.endm

.macro _global_atomic_cmpswap_b32 tmp base data src ioffset md
    global_atomic_cmpswap \tmp \base \data \src \ioffset \md
.endm

.macro _global_atomic_cmpswap_b64 tmp base data src ioffset md
    global_atomic_cmpswap_x2 \tmp \base \data \src \ioffset \md
.endm


/******************************************/
/* Magic div and mod functions            */
/******************************************/
.macro V_MAGIC_DIV dstIdx:req, dividend:req, magicNumber:req, magicShift:req, magicA:req
    v_mul_hi_u32 v[\dstIdx+1], \dividend, \magicNumber
    v_mul_lo_u32 v[\dstIdx+0], \dividend, \magicA
    _v_add_u32 v[\dstIdx+0], v[\dstIdx+0], v[\dstIdx+1]
    v_lshrrev_b32 v[\dstIdx+0], \magicShift, v[\dstIdx+0]
.endm

/******************************************/
/* VGPR Assignments                       */
/******************************************/
/* ValuC range: [0-0), serializedStore enabled */
.set vgprValuC, 0
/* ValuA/B   Xn=PLR buffer idx,  In=InnerUnroll idx */
.set vgprValuA_X0_I0, 0
.set vgprValuA_X1_I0, 8
.set vgprG2LA, 38
.set vgprValuB_X0_I0, 16
.set vgprValuB_X1_I0, 24
.set vgprG2LB, 46
.set vgprLocalWriteAddrA, 32
.set vgprLocalWriteAddrB, 33
.set vgprGlobalReadOffsetA, 34
.set vgprGlobalReadOffsetB, 36
.set vgprLocalReadAddrA, 54
.set vgprLocalReadAddrB, 55
.set vgprSerial, 56
/* Num VGPR=256 */
/* Num AccVGPR=256 */

/******************************************/
/* SGPR Assignments                       */
/******************************************/
.set sgprKernArgAddress, 0 // (2)
.set sgprWorkGroup0, 2 // (1)
.set sgprWorkGroup1, 3 // (1)
.set sgprWorkGroup2, 4 // (1)
.set sgprLoopCounterL, 5 // (1)
.set sgprOrigLoopCounter, 6 // (1)
.set sgprSrdA, 8 // (4)
.set sgprSrdB, 12 // (4)
.set sgprSrdD, 16 // (4)
.set sgprSrdC, 20 // (4)
.set sgprTensor2dSizeA, 24 // (2)
.set sgprTensor2dSizeB, 26 // (2)
.set sgprAddressD, 28 // (2)
.set sgprAddressC, 30 // (2)
.set sgprAddressA, 32 // (2)
.set sgprAddressB, 34 // (2)
.set sgprAlpha, 36 // (1)
.set sgprBeta, 37 // (1)
.set sgprStridesD, 38 // (2)
.set sgprStridesC, 40 // (2)
.set sgprStridesA, 42 // (2)
.set sgprStridesB, 44 // (2)
.set sgprSizesFree, 46 // (3)
.set sgprSizesSum, 49 // (1)
.set sgprOrigStaggerUIter, 50 // (1)
.set sgprNumWorkGroups0, 51 // (1)
.set sgprNumWorkGroups1, 52 // (1)
.set sgprNumFullBlocks, 53 // (1)
.set sgprWgmRemainder1, 54 // (1)
.set sgprMagicNumberWgmRemainder1, 55 // (1)
.set sgprShadowLimitA, 0 // (2)
.set sgprShadowLimitB, 28 // (2)
.set sgprStaggerUIter, 7 // (1)
.set sgprWrapUA, 30 // (2)
.set sgprWrapUB, 32 // (2)
.set sgprGlobalReadIncsA, 34 // (1)
.set sgprGlobalReadIncsB, 35 // (1)
/* max SGPR=63 */

/* Size Assignments */
.set sgprSizeI, sgprSizesFree+0
.set sgprSizeJ, sgprSizesFree+1
.set sgprSizeK, sgprSizesFree+2
.set sgprSizeL, sgprSizesSum+0

/* Stride Assignments */
.set constStrideD0I, 1
.set sgprStrideD1J, sgprStridesD+0
.set sgprStrideDK, sgprStridesD+1
.set constStrideC0I, 1
.set sgprStrideC1J, sgprStridesC+0
.set sgprStrideCK, sgprStridesC+1
.set constStrideA0I, 1
.set sgprStrideAL, sgprStridesA+0
.set sgprStrideAK, sgprStridesA+1
.set constStrideB1J, 1
.set sgprStrideBL, sgprStridesB+0
.set sgprStrideBK, sgprStridesB+1

.set MT0, 256
.set MT1, 256
.set DepthU, 16
.set GSU, 1
.set BpeA, 2
.set BpeALog2, 1
.set BpeB, 2
.set BpeBLog2, 1
/* Number of elements to shift-left SRD */
.set SrdShiftLeftA, 8
.set SrdShiftLeftB, 8
/* 2GB limit - set offsets to -1 to exceed this and clamp */
.set BufferLimitA, 0xffffffff
.set BufferLimitB, 0xffffffff
.set BufferOOB, 0xfffff000

/******************************************/
/* Bits 127:96 of SRD.                    */
/* hex: 0x00020000                        */
/* dst_sel_x (3b): 0                      */
/* dst_sel_y (3b): 0                      */
/* dst_sel_z (3b): 0                      */
/* dst_sel_w (3b): 0                      */
/* num_format (3b): 0                     */
/* data_format (4b): 4                    */
/* user_vm_enable (1b): 0                 */
/* user_vm_mode (1b): 0                   */
/* index_stride (2b): 0                   */
/* add_tid_enable (1b): 0                 */
/* _unusedA (3b): 0                       */
/* nv (1b): 0                             */
/* _unusedB (2b): 0                       */
/* type (2b): 0                           */
/******************************************/
.set Srd127_96, 0x00020000

/* Global Offset A */
.macro GLOBAL_OFFSET_A vgprAddr:req vgprOffset0I:req vgprOffsetL:req vgprTmp:req
v_mul_lo_u32 v[\vgprTmp+0], s[sgprStrideAL], v[\vgprOffsetL] // mul d1 lower
_v_add_co_u32 v[\vgprAddr+0], vcc, v[\vgprOffset0I], v[\vgprTmp+0] // accumulate K lower
_v_add_u32 v[\vgprAddr+0], 0x8, v[\vgprAddr+0]     // add prepad for pointer shift
v_lshlrev_b32 v[\vgprAddr+0], 0x1, v[\vgprAddr+0]  // offset *= bytes/element
.endm

/* Global Offset B */
.macro GLOBAL_OFFSET_B vgprAddr:req vgprOffset1J:req vgprOffsetL:req vgprTmp:req
v_mul_lo_u32 v[\vgprTmp+0], s[sgprStrideBL], v[\vgprOffsetL] // mul d1 lower
_v_add_co_u32 v[\vgprAddr+0], vcc, v[\vgprOffset1J], v[\vgprTmp+0] // accumulate K lower
_v_add_u32 v[\vgprAddr+0], 0x8, v[\vgprAddr+0]     // add prepad for pointer shift
v_lshlrev_b32 v[\vgprAddr+0], 0x1, v[\vgprAddr+0]  // offset *= bytes/element
.endm

/******************************************/
/* Dynamic Scalar Divide: vQuotient=vDividend/vDivisor; vRemainder=vDividend%vDivisor; */
/******************************************/
.macro DYNAMIC_VECTOR_DIVIDE vQuotient vRemainder vDividend vDivisor vTmp0 vTmp1 sTmp
v_cvt_f32_u32 v[\vQuotient], v[\vDivisor]          // 
v_rcp_f32 v[\vQuotient], v[\vQuotient]             // 
v_mul_f32 v[\vQuotient], 0x4f800000, v[\vQuotient] // 
v_cvt_u32_f32 v[\vQuotient], v[\vQuotient]         // 
v_mul_lo_u32 v[\vRemainder], v[\vDivisor], v[\vQuotient] // 
v_mul_hi_u32 v[\vTmp0], v[\vDivisor], v[\vQuotient] // 
_v_sub_co_u32 v[\vTmp1], vcc, 0x0, v[\vRemainder]  // 
v_cmp_ne_i32 s[\sTmp:\sTmp+1], 0x0, v[\vTmp0]      // 
v_cndmask_b32 v[\vRemainder], v[\vTmp1], v[\vRemainder], s[\sTmp:\sTmp+1] // 
v_mul_hi_u32 v[\vRemainder], v[\vRemainder], v[\vQuotient] // 
_v_sub_co_u32 v[\vTmp0], vcc, v[\vQuotient], v[\vRemainder] // 
_v_add_co_u32 v[\vQuotient], vcc, v[\vQuotient], v[\vRemainder] // 
v_cndmask_b32 v[\vQuotient], v[\vQuotient], v[\vTmp0], s[\sTmp:\sTmp+1] // 
v_mul_hi_u32 v[\vQuotient], v[\vQuotient], v[\vDividend] // 
v_mul_lo_u32 v[\vRemainder], v[\vQuotient], v[\vDivisor] // 
_v_sub_co_u32 v[\vTmp0], vcc, v[\vDividend], v[\vRemainder] // 
v_cmp_ge_u32 s[\sTmp:\sTmp+1], v[\vDividend], v[\vRemainder] // 
_v_add_co_u32 v[\vRemainder], vcc, 0x1, v[\vQuotient] // 
_v_add_co_u32 v[\vTmp1], vcc, -1, v[\vQuotient]    // 
v_cmp_le_u32 vcc, v[\vDivisor], v[\vTmp0]          // 
s_and_b64 vcc, s[\sTmp:\sTmp+1], vcc               // 
v_cndmask_b32 v[\vQuotient], v[\vQuotient], v[\vRemainder], vcc // 
v_cndmask_b32 v[\vQuotient], v[\vTmp1], v[\vQuotient], s[\sTmp:\sTmp+1] // 
v_cmp_ne_i32 vcc, 0x0, v[\vDivisor]                // 
v_cndmask_b32 v[\vQuotient], -1, v[\vQuotient], vcc // final result
v_mul_lo_u32 v[\vRemainder], v[\vQuotient], v[\vDivisor] // 
_v_sub_co_u32 v[\vRemainder], vcc, v[\vDividend], v[\vRemainder] // final result
.endm


	;; [unrolled: 1-line block ×3, first 2 shown]
/******************************************/
/* Allocate Resources                     */
/******************************************/

Cijk_Ailk_Bjlk_HSS_BH_MT256x256x16_MI32x32x8x1_SN_1LDSB0_APM1_AF0EM8_AF1EM1_AMAS3_ASE_ASAE01_ASCE01_ASEM1_BL1_DTLA0_DTLB0_DVO0_EPS1_FL0_GLVWA8_GLVWB8_GRVW8_GSU1_GSUASB_ISA908_IU1_K1_KLA_LBSPPA0_LBSPPB0_LPA0_LPB0_LDL1_LRVW4_LDW0_MAC_MDA2_MMFGLC_NTC0_NTD0_NEPBS0_NLCA1_NLCB1_ONLL1_OPLV0_PK0_PAP0_PGR1_PLR1_SIA3_SS1_SU32_SUM0_SUS128_SPO0_SRVW0_SSO0_SVW4_SNLL0_TT4_128_TLDS0_UMLDSA0_UMLDSB0_USFGROn1_VAW2_VSn1_VW4_VWB2_WSGRA1_WSGRB1_WG64_4_1_WGM4_preloaded: // Kernel start when preloading

/* Load Kernel Args */
_s_load_b512 s[24:39], s[sgprKernArgAddress:sgprKernArgAddress+1], 0x0 // 
_s_load_b512 s[40:55], s[sgprKernArgAddress:sgprKernArgAddress+1], 0x40 // 
s_mov_b32 m0, 0x8000                               // LDS clamp at 32768 bytes
v_mov_b32 v[vgprSerial], v0                        // thread serial id

/******************************************/
/* Local Read Addresses                   */
/******************************************/


/* local read addresses: tile assignments a/b */

/*lr0I*/
v_and_b32 v1, 63, v[vgprSerial]                    // 0. thread id in wave: wtid = tid % wavelength(64)
v_and_b32 v0, 31, v1                               // 1. N offset: nIdx = wtid % MI_N(32)
                                                   // 1. N offset: nOffset = nIdx * nStride(1) (multiplier is 1, do nothing)
                                                   // 2. block offset: bnIdx = bnIdx % num1DBlocks(1) is 0. do nothing
v_lshlrev_b32 v0, 0x2, v0                          // 4. apply VectorWidth: bnOffset = bnOffset * vw(4)
v_lshrrev_b32 v1, 5, v1                            // 5. K offset: kIdx = wtid / (MIN(32) * MIBB(1))
v_lshlrev_b32 v1, 0xa, v1                          // 5. K offset: lrKOffset = kIdx * mStride(1024)
_v_add_u32 v0, v1, v0                              // 6. offset in wave: lrOffset = bnOffset + lrKOffset
v_lshrrev_b32 v2, 6, v[vgprSerial]                 // 7. wave offset in N dimen: wtid = tid / dividedForWaveId(64)
v_and_b32 v1, 1, v2                                // 7. wave offset in M dimen: wtid0 = wtid / num1DWaves(2)
v_lshlrev_b32 v1, 0x7, v1                          // 7. wave offset in M dimen: wOffset = wtid0 * W0Stride(128)
_v_add_u32 v0, v1, v0                              // 8. final local read offset: flrOffset = lrOffset + WOffset
/*lr1J*/
v_and_b32 v2, 63, v[vgprSerial]                    // 0. thread id in wave: wtid = tid % wavelength(64)
v_and_b32 v1, 31, v2                               // 1. N offset: nIdx = wtid % MI_N(32)
                                                   // 1. N offset: nOffset = nIdx * nStride(1) (multiplier is 1, do nothing)
                                                   // 2. block offset: bnIdx = bnIdx % num1DBlocks(1) is 0. do nothing
v_lshlrev_b32 v1, 0x1, v1                          // 4. apply VectorWidth: bnOffset = bnOffset * vw(2)
v_lshrrev_b32 v2, 5, v2                            // 5. K offset: kIdx = wtid / (MIN(32) * MIBB(1))
v_lshlrev_b32 v2, 0xa, v2                          // 5. K offset: lrKOffset = kIdx * mStride(1024)
_v_add_u32 v1, v2, v1                              // 6. offset in wave: lrOffset = bnOffset + lrKOffset
v_lshrrev_b32 v3, 7, v[vgprSerial]                 // 7. wave offset in N dimen: wtid = tid / dividedForWaveId(128)
v_and_b32 v2, 1, v3                                // 7. wave offset in M dimen: wtid0 = wtid / num1DWaves(2)
v_lshlrev_b32 v2, 0x6, v2                          // 7. wave offset in M dimen: wOffset = wtid0 * W0Stride(64)
_v_add_u32 v1, v2, v1                              // 8. final local read offset: flrOffset = lrOffset + WOffset


/* local read addresses: final offsets a */

v_lshlrev_b32 v[vgprLocalReadAddrA], 0x1, v0       // Final Offset: offset = (lro0)*bpe


/* local read addresses: final offsets b */

v_lshlrev_b32 v[vgprLocalReadAddrB], 0x1, v1       // Final Offset: offset = (lro1)*bpe


/* local read addresses: declare addresses a */

/* N/A */


/* local read addresses: declare addresses b */

_v_add_co_u32 v[vgprLocalReadAddrB+0], vcc, 0x2000, v[vgprLocalReadAddrB+0] //  += LdsOffsetB (lower)


/* global read addresses: tile offset assignment a */

/* LVCA = 32 */
/* v0 = (local)groA-tile = serial%LVCA (note (wgA*MTA) will be added to SRD) */
/* v1 = groA-unroll = serial/LVCA */
v_and_b32 v2, 63, v[vgprSerial]                    // v2 = v[vgprSerial] % 64
v_lshrrev_b32 v1, 5, v2                            // v1 = v2 / 32
v_and_b32 v0, 31, v2                               // v0 = v2 % 32
v_readfirstlane_b32 s56, v[vgprSerial]             // WaveIdxWavefrontWidth
s_lshr_b32 s56, s56, 0x6                           // WaveId
s_mul_i32 s56, s56, 4                              // Global Read Wave: each wave loads continuous lsp(2)*nrp(2) columns
_v_add_u32 v1, s56, v1                             // Global Read Wave: add back to column index
/* gro-tile *= glvw */
v_lshlrev_b32 v0, 0x3, v0                          // v0 = v0 * 8


/* global read addresses: tile offset assignment b */

/* LVCB = 32 */
/* v2 = (local)groB-tile = serial%LVCB (note (wgB*MTB) will be added to SRD) */
/* v3 = groB-unroll = serial/LVCB */
v_and_b32 v4, 63, v[vgprSerial]                    // v4 = v[vgprSerial] % 64
v_lshrrev_b32 v3, 5, v4                            // v3 = v4 / 32
v_and_b32 v2, 31, v4                               // v2 = v4 % 32
v_readfirstlane_b32 s56, v[vgprSerial]             // WaveIdxWavefrontWidth
s_lshr_b32 s56, s56, 0x6                           // WaveId
s_mul_i32 s56, s56, 4                              // Global Read Wave: each wave loads continuous lsp(2)*nrp(2) columns
_v_add_u32 v3, s56, v3                             // Global Read Wave: add back to column index
/* gro-tile *= glvw */
v_lshlrev_b32 v2, 0x3, v2                          // v2 = v2 * 8


/******************************************/
/* Local Write Addresses                  */
/******************************************/

/* lwaTileAssignmentA = v0 */

/* lwaTileAssignmentB = v2 */

/* lwaUnrollAssignmentA = v1 */

/* lwaUnrollAssignmentB = v3 */


/* local write addresses: first offset a */

v_mul_u32_u24 v[vgprLocalWriteAddrA], 0x100, v1    // lwAL**(MTA + PAD)
_v_add_lshl_u32 v[vgprLocalWriteAddrA], v0, v[vgprLocalWriteAddrA], 0x1 // lwFOA = (lwAA + lwAL*(MT0I+PAD))*bpe


/* local write addresses: first offset b */

v_mul_u32_u24 v[vgprLocalWriteAddrB], 0x100, v3    // lwBL**(MTB + PAD)
_v_add_lshl_u32 v[vgprLocalWriteAddrB], v2, v[vgprLocalWriteAddrB], 0x1 // lwFOB = (lwBB + lwBL*(MT1J+PAD))*bpe
_v_add_co_u32 v[vgprLocalWriteAddrB], vcc, 0x2000, v[vgprLocalWriteAddrB] // lwFOB = lwB1J + lwBL*MT1J + LDS_OFFSET_B=4096*2


	;; [unrolled: 1-line block ×7, first 2 shown]
s_waitcnt lgkmcnt(0)                               // wait for 128 bytes of kern args
s_mov_b64 s[sgprSrdC+0:sgprSrdC+0+1], s[sgprAddressC+0:sgprAddressC+0+1] // copy addressC
s_mov_b64 s[sgprSrdD+0:sgprSrdD+0+1], s[sgprAddressD+0:sgprAddressD+0+1] // copy addressD
s_sub_u32 s[sgprSrdA+0], s[sgprAddressA+0], 16     // pre-pad to make room for possible pointer shift
s_subb_u32 s[sgprSrdA+1], s[sgprAddressA+1], 0     // pre-pad to make room for possible pointer shift
s_sub_u32 s[sgprSrdB+0], s[sgprAddressB+0], 16     // pre-pad to make room for possible pointer shift
s_subb_u32 s[sgprSrdB+1], s[sgprAddressB+1], 0     // pre-pad to make room for possible pointer shift

.set AddressD, UNDEF
.set AddressC, UNDEF
.set AddressA, UNDEF
.set AddressB, UNDEF

/* Short circuit condition if Alpha == 0, then sumDims=0 */
v_cmp_eq_f32 vcc, s[sgprAlpha], 0.0                // Alpha == 0.0f ?
s_cbranch_vccz label_AlphaNonZero                  // branch if alpha != 0
s_mov_b32 s[sgprSizesSum+0], 0x0                   // Set summation dim=0 if Alpha == 0
label_AlphaNonZero:


	;; [unrolled: 1-line block ×3, first 2 shown]
/******************************************/
/* Begin setupNewTile, isPap=False           */
/******************************************/


/* global read addresses: work-group */

/* graWorkGroup mapping */
s_mov_b32 s61, 0x20000001L                         // magic number for WGM==4
s_mul_hi_u32 s59, s[sgprWorkGroup1], s61           // s_magic mul
s_mul_i32 s58, s[sgprWorkGroup1], s61              // s_magic mul
s_lshr_b64 s[58:59], s[58:59], 31                  // sMagicDiv
s_mul_i32 s59, s58, 4                              // quotient * non-magic divisor
s_sub_u32 s59, s[sgprWorkGroup1], s59              // WorkGroup1=remainder
s_mul_i32 s59, s59, s[sgprNumWorkGroups0]          // (wg1 % WGM)*nwg0
s_add_u32 s59, s59, s[sgprWorkGroup0]              // wgSerial = wg0 + (wg1 % WGM)*nwg1
s_cmp_ge_u32 s58, s[sgprNumFullBlocks]             // blockId >= numFullBlocks ?
s_cmov_b32 s61, s[sgprMagicNumberWgmRemainder1]    // 
s_cselect_b32 s60, s[sgprWgmRemainder1], 4         // 
s_mul_hi_u32 s3, s59, s61                          // s_magic mul
s_mul_i32 s2, s59, s61                             // s_magic mul
s_lshr_b64 s[2:3], s[2:3], 31                      // sMagicDiv
s_mul_i32 s[sgprWorkGroup1], s[sgprWorkGroup0], s60 // quotient * non-magic divisor
s_sub_u32 s[sgprWorkGroup1], s59, s[sgprWorkGroup1] // WorkGroup1=remainder
s_mul_i32 s58, s58, 4                              // blockId * WGM
s_add_u32 s[sgprWorkGroup1], s[sgprWorkGroup1], s58 // wg1 += blockId * WGM


/* global read addresses: unroll assignment a */

/* v1 */


/* global read addresses: unroll assignment b */

/* v3 */


/* global read addresses: other free assignments */

/* s[sgprWorkGroup2] */


/* global read addresses: tile offsets a */

v_mov_b32 v4, v0                                   // groA0I_0


/* global read addresses: tile offsets b */

v_mov_b32 v5, v2                                   // groB1J_0


/* global read addresses: unroll offsets a */

v_mov_b32 v6, v1                                   // groAL_0
_v_add_co_u32 v7, vcc, 2, v6                       // groAL_1 + LSPA


/* global read addresses: unroll offsets b */

v_mov_b32 v8, v3                                   // groBL_0
_v_add_co_u32 v9, vcc, 2, v8                       // groBL_1 + LSPB


/* global read addresses: shift b */

s_mul_i32 s58, s[sgprWorkGroup1], 256              // WorkGroup[01] * MT
s_sub_u32 s58, s[sgprSizeJ], s58                   // edge = Size1J - WG*MT
s_sub_u32 s58, s58, 8                              // edge -= margin(8)
v_mov_b32 v10, s58                                 // edge vgpr = Size1J- WG*MT - margin(8)
v_min_i32 v5, v10, v5                              // offset = (offset < edge) ? offset(v5) : edge(v10)


/* global read addresses: final offsets a */

GLOBAL_OFFSET_A vgprGlobalReadOffsetA+0,  4,  6, 10 // gROA_0_0_0_0
GLOBAL_OFFSET_A vgprGlobalReadOffsetA+1,  4,  7, 10 // gROA_0_0_1_0


/* global read addresses: final offsets b */

GLOBAL_OFFSET_B vgprGlobalReadOffsetB+0,  5,  8, 10 // gROB_0_0_0_0
GLOBAL_OFFSET_B vgprGlobalReadOffsetB+1,  5,  9, 10 // gROB_0_0_1_0


/* global read addresses: addresses a */

/* max read offset = size[n] * stride[n-1] */
s_mul_hi_u32 s61, s[sgprWorkGroup0], 256           // WorkGroup[01] * MT
s_mul_i32 s60, s[sgprWorkGroup0], 256              // WorkGroup[01] * MT
s_sub_u32 s[sgprShadowLimitA+0], s[sgprTensor2dSizeA], s60 // sub tileStart
s_subb_u32 s[sgprShadowLimitA+1], s[sgprTensor2dSizeA+1], s61 // sub tileStart
s_lshl_b64 s[sgprShadowLimitA:sgprShadowLimitA+1], s[sgprShadowLimitA:sgprShadowLimitA+1], 0x1 // Set limit to use bytes
s_add_u32 s[sgprShadowLimitA+0], s[sgprShadowLimitA+0], 16 // extend limit for pre-pad
s_addc_u32 s[sgprShadowLimitA+1], s[sgprShadowLimitA+1], 0 // extend limit for pre-pad
s_cmp_eq_u32 s[sgprShadowLimitA+1], 0              // are we within 2^32?
s_cselect_b32 s[sgprSrdA+2], s[sgprShadowLimitA+0], BufferLimitA // Move shadow to real if we are within 2^32
s_mul_hi_u32 s59, s[sgprStrideAK], s[sgprWorkGroup2] // Stride*WG
s_mul_i32 s58, s[sgprStrideAK], s[sgprWorkGroup2]  // Stride*WG
s_add_u32 s60, s60, s58                            // accum wg term to tilestart
s_addc_u32 s61, s61, s59                           // accum wg term to tilestart
s_lshl_b64 s[60:61], s[60:61], 0x1                 // tileStart *= BPE
s_add_u32 s[sgprSrdA+0], s[sgprSrdA+0], s60        // SRD base = Address+ tileStart0
s_addc_u32 s[sgprSrdA+1], s[sgprSrdA+1], s61       // SRD base = Address+ tileStart1
s_mov_b32 s[sgprSrdA+3], Srd127_96                 // Set bits 127_96 in SRD


/* global read addresses: addresses b */

/* max read offset = size[n] * stride[n-1] */
s_mul_hi_u32 s61, s[sgprWorkGroup1], 256           // WorkGroup[01] * MT
s_mul_i32 s60, s[sgprWorkGroup1], 256              // WorkGroup[01] * MT
s_sub_u32 s[sgprShadowLimitB+0], s[sgprTensor2dSizeB], s60 // sub tileStart
s_subb_u32 s[sgprShadowLimitB+1], s[sgprTensor2dSizeB+1], s61 // sub tileStart
s_lshl_b64 s[sgprShadowLimitB:sgprShadowLimitB+1], s[sgprShadowLimitB:sgprShadowLimitB+1], 0x1 // Set limit to use bytes
s_add_u32 s[sgprShadowLimitB+0], s[sgprShadowLimitB+0], 16 // extend limit for pre-pad
s_addc_u32 s[sgprShadowLimitB+1], s[sgprShadowLimitB+1], 0 // extend limit for pre-pad
s_cmp_eq_u32 s[sgprShadowLimitB+1], 0              // are we within 2^32?
s_cselect_b32 s[sgprSrdB+2], s[sgprShadowLimitB+0], BufferLimitB // Move shadow to real if we are within 2^32
s_mul_hi_u32 s59, s[sgprStrideBK], s[sgprWorkGroup2] // Stride*WG
s_mul_i32 s58, s[sgprStrideBK], s[sgprWorkGroup2]  // Stride*WG
s_add_u32 s60, s60, s58                            // accum wg term to tilestart
s_addc_u32 s61, s61, s59                           // accum wg term to tilestart
s_lshl_b64 s[60:61], s[60:61], 0x1                 // tileStart *= BPE
s_add_u32 s[sgprSrdB+0], s[sgprSrdB+0], s60        // SRD base = Address+ tileStart0
s_addc_u32 s[sgprSrdB+1], s[sgprSrdB+1], s61       // SRD base = Address+ tileStart1
s_mov_b32 s[sgprSrdB+3], Srd127_96                 // Set bits 127_96 in SRD


/* global read addresses: increments a */

s_mul_i32 s[sgprGlobalReadIncsA+0], DepthU*BpeA, s[sgprStrideAL] // incrA unrollIdx)


/* global read addresses: increments b */

s_mul_i32 s[sgprGlobalReadIncsB+0], DepthU*BpeB, s[sgprStrideBL] // incrB unrollIdx)

/* declare loop num iterations */


s_lshr_b32 s[sgprLoopCounterL], s[sgprSizesSum+0], 4 // s[sgprLoopCounterL] = s[sgprSizesSum+0] / 16
s_mov_b32 s[sgprOrigLoopCounter], s[sgprLoopCounterL] // copy loop counter

s_and_b32 s[sgprStaggerUIter], s[sgprOrigStaggerUIter], s[sgprWorkGroup0] // Compute actual stagger start for this tile
s_lshl_b32 s[sgprStaggerUIter], s[sgprStaggerUIter], 2 // shift by StaggerUStride


/* SRDs += (StaggerUIter) * GlobalReadIncsA+0 */
s_mul_hi_u32 s59, s[sgprStaggerUIter], s[sgprGlobalReadIncsA+0] //  stagger byte offset
s_mul_i32 s58, s[sgprStaggerUIter], s[sgprGlobalReadIncsA+0] //  stagger byte offset
s_mul_hi_u32 s[sgprWrapUA+1], s[sgprLoopCounterL], s[sgprGlobalReadIncsA+0] // Number of bytes accessed by the unroll loop
s_mul_i32 s[sgprWrapUA+0], s[sgprLoopCounterL], s[sgprGlobalReadIncsA+0] // Number of bytes accessed by the unroll loop
s_sub_u32 s[sgprWrapUA+0], s[sgprGlobalReadIncsA+0], s[sgprWrapUA+0] // remove one iteration
s_subb_u32 s[sgprWrapUA+1], 0, s[sgprWrapUA+1]     // remove one iteration
s_add_u32 s[sgprSrdA+0], s[sgprSrdA+0], s58        // gra SRD += inc(lower)
s_addc_u32  s[sgprSrdA+1], s[sgprSrdA+1], s59      // gra SRD += inc(upper)
s_sub_u32 s[sgprShadowLimitA+0], s[sgprShadowLimitA+0], s58 // limit -= inc)
s_subb_u32 s[sgprShadowLimitA+1], s[sgprShadowLimitA+1], s59 // limit -= inc)
s_cmp_eq_u32 s[sgprShadowLimitA+1], 0              // are we within 2^32?
s_cselect_b32 s[sgprSrdA+2], s[sgprShadowLimitA+0], BufferLimitA // Move shadow to real if we are within 2^32


/* SRDs += (StaggerUIter) * GlobalReadIncsB+0 */
s_mul_hi_u32 s59, s[sgprStaggerUIter], s[sgprGlobalReadIncsB+0] //  stagger byte offset
s_mul_i32 s58, s[sgprStaggerUIter], s[sgprGlobalReadIncsB+0] //  stagger byte offset
s_mul_hi_u32 s[sgprWrapUB+1], s[sgprLoopCounterL], s[sgprGlobalReadIncsB+0] // Number of bytes accessed by the unroll loop
s_mul_i32 s[sgprWrapUB+0], s[sgprLoopCounterL], s[sgprGlobalReadIncsB+0] // Number of bytes accessed by the unroll loop
s_sub_u32 s[sgprWrapUB+0], s[sgprGlobalReadIncsB+0], s[sgprWrapUB+0] // remove one iteration
s_subb_u32 s[sgprWrapUB+1], 0, s[sgprWrapUB+1]     // remove one iteration
s_add_u32 s[sgprSrdB+0], s[sgprSrdB+0], s58        // gra SRD += inc(lower)
s_addc_u32  s[sgprSrdB+1], s[sgprSrdB+1], s59      // gra SRD += inc(upper)
s_sub_u32 s[sgprShadowLimitB+0], s[sgprShadowLimitB+0], s58 // limit -= inc)
s_subb_u32 s[sgprShadowLimitB+1], s[sgprShadowLimitB+1], s59 // limit -= inc)
s_cmp_eq_u32 s[sgprShadowLimitB+1], 0              // are we within 2^32?
s_cselect_b32 s[sgprSrdB+2], s[sgprShadowLimitB+0], BufferLimitB // Move shadow to real if we are within 2^32
s_add_u32 s[sgprStaggerUIter], s[sgprStaggerUIter], 2 // Subtract (PGR-1); StaggerUIter now contains target iteration to wrap

/* local read addresses: init pointers a */


/* localReadInitPointers */

/* local read addresses: init pointers b */


/* localReadInitPointers */


/* prefetch: global -> local */

s_cmp_eq_u32 s[sgprLoopCounterL], 0                // at last iteration?
s_cbranch_scc1 ShadowInitStart_10                  // skip to ShadowInitStart iter b/c numIter==0


_buffer_load_b128 v[vgprG2LA+0:vgprG2LA+0+3], v[vgprGlobalReadOffsetA+0], s[sgprSrdA:sgprSrdA+3], 0, offen offset:0 // G -> Reg 0_0_0_0
_buffer_load_b128 v[vgprG2LA+4:vgprG2LA+4+3], v[vgprGlobalReadOffsetA+1], s[sgprSrdA:sgprSrdA+3], 0, offen offset:0 // G -> Reg 0_0_1_0


_buffer_load_b128 v[vgprG2LB+0:vgprG2LB+0+3], v[vgprGlobalReadOffsetB+0], s[sgprSrdB:sgprSrdB+3], 0, offen offset:0 // G -> Reg 0_0_0_0
_buffer_load_b128 v[vgprG2LB+4:vgprG2LB+4+3], v[vgprGlobalReadOffsetB+1], s[sgprSrdB:sgprSrdB+3], 0, offen offset:0 // G -> Reg 0_0_1_0


/* global read inc A loopL */
s_add_u32 s60, s[sgprLoopCounterL], 1              // remove pf(1)
s_cmp_eq_u32 s[sgprStaggerUIter], s60              // Is this wrapIter? (pf)
s_cselect_b32 s58, s[sgprWrapUA+0], s[sgprGlobalReadIncsA+0] // incLower <- ?
s_cselect_b32 s59, s[sgprWrapUA+1], 0              // incUpper <- ?
s_add_u32 s[sgprSrdA+0], s[sgprSrdA+0], s58        // gra SRD += inc(lower)
s_addc_u32  s[sgprSrdA+1], s[sgprSrdA+1], s59      // gra SRD += inc(upper)
s_sub_u32 s[sgprShadowLimitA+0], s[sgprShadowLimitA+0], s58 // limit -= inc)
s_subb_u32 s[sgprShadowLimitA+1], s[sgprShadowLimitA+1], s59 // limit -= inc)
s_cmp_eq_u32 s[sgprShadowLimitA+1], 0              // are we within 2^32?
s_cselect_b32 s[sgprSrdA+2], s[sgprShadowLimitA+0], BufferLimitA // Move shadow to real if we are within 2^32

/* global read inc B loopL */
s_add_u32 s60, s[sgprLoopCounterL], 1              // remove pf(1)
s_cmp_eq_u32 s[sgprStaggerUIter], s60              // Is this wrapIter? (pf)
s_cselect_b32 s58, s[sgprWrapUB+0], s[sgprGlobalReadIncsB+0] // incLower <- ?
s_cselect_b32 s59, s[sgprWrapUB+1], 0              // incUpper <- ?
s_add_u32 s[sgprSrdB+0], s[sgprSrdB+0], s58        // gra SRD += inc(lower)
s_addc_u32  s[sgprSrdB+1], s[sgprSrdB+1], s59      // gra SRD += inc(upper)
s_sub_u32 s[sgprShadowLimitB+0], s[sgprShadowLimitB+0], s58 // limit -= inc)
s_subb_u32 s[sgprShadowLimitB+1], s[sgprShadowLimitB+1], s59 // limit -= inc)
s_cmp_eq_u32 s[sgprShadowLimitB+1], 0              // are we within 2^32?
s_cselect_b32 s[sgprSrdB+2], s[sgprShadowLimitB+0], BufferLimitB // Move shadow to real if we are within 2^32


/******************************************/
/* End setupNewTile, isPap=False             */
/******************************************/

ShadowInitStart_10: // 

s_mov_b32 s[sgprSrdD+2], BufferOOB                 // 
s_mov_b32 s[sgprSrdD+3], Srd127_96                 // Set bits 127_96 in post-loop SRD

s_mov_b32 s[sgprSrdC+2], BufferOOB                 // 
s_mov_b32 s[sgprSrdC+3], Srd127_96                 // Set bits 127_96 in post-loop SRD


s_mul_i32 s58, MT1, s[sgprWorkGroup1]              // <- wg1*MT1
s_mul_hi_u32 s57, s58, s[sgprStrideC1J]            // CScale s58 by Stride
s_mul_i32 s56, s58, s[sgprStrideC1J]               // CScale s58 by Stride
s_lshl_b64 s[56:57], s[56:57], 2                   // scale by bpe
s_add_u32 s[sgprSrdC+0], s[sgprSrdC+0], s56        // add lo to SRD
s_addc_u32 s[sgprSrdC+1], s[sgprSrdC+1], s57       // add hi to SRD
s_mul_hi_u32 s57, s58, s[sgprStrideD1J]            // Scale s58 by Stride
s_mul_i32 s56, s58, s[sgprStrideD1J]               // Scale s58 by Stride
s_lshl_b64 s[56:57], s[56:57], 2                   // scale by bpe
s_add_u32 s[sgprSrdD+0], s[sgprSrdD+0], s56        // add lo to SRD
s_addc_u32 s[sgprSrdD+1], s[sgprSrdD+1], s57       // add hi to SRD

s_mul_hi_u32 s57, s[sgprWorkGroup2], s[sgprStrideCK] // CScale s[sgprWorkGroup2] by Stride
s_mul_i32 s56, s[sgprWorkGroup2], s[sgprStrideCK]  // CScale s[sgprWorkGroup2] by Stride
s_lshl_b64 s[56:57], s[56:57], 2                   // scale by bpe
s_add_u32 s[sgprSrdC+0], s[sgprSrdC+0], s56        // add lo to SRD
s_addc_u32 s[sgprSrdC+1], s[sgprSrdC+1], s57       // add hi to SRD
s_mul_hi_u32 s57, s[sgprWorkGroup2], s[sgprStrideDK] // Scale s[sgprWorkGroup2] by Stride
s_mul_i32 s56, s[sgprWorkGroup2], s[sgprStrideDK]  // Scale s[sgprWorkGroup2] by Stride
s_lshl_b64 s[56:57], s[56:57], 2                   // scale by bpe
s_add_u32 s[sgprSrdD+0], s[sgprSrdD+0], s56        // add lo to SRD
s_addc_u32 s[sgprSrdD+1], s[sgprSrdD+1], s57       // add hi to SRD


	;; [unrolled: 1-line block ×3, first 2 shown]
/* initC: remove C-tile 0-0 from pool */

/* initC: remove AB-tile 0-32 from pool */
v_accvgpr_write acc0, 0x0                          // initC
v_accvgpr_write acc1, 0x0                          // initC
v_accvgpr_write acc2, 0x0                          // initC
v_accvgpr_write acc3, 0x0                          // initC
v_accvgpr_write acc4, 0x0                          // initC
v_accvgpr_write acc5, 0x0                          // initC
v_accvgpr_write acc6, 0x0                          // initC
v_accvgpr_write acc7, 0x0                          // initC
v_accvgpr_write acc8, 0x0                          // initC
v_accvgpr_write acc9, 0x0                          // initC
v_accvgpr_write acc10, 0x0                         // initC
v_accvgpr_write acc11, 0x0                         // initC
v_accvgpr_write acc12, 0x0                         // initC
v_accvgpr_write acc13, 0x0                         // initC
v_accvgpr_write acc14, 0x0                         // initC
v_accvgpr_write acc15, 0x0                         // initC
v_accvgpr_write acc16, 0x0                         // initC
v_accvgpr_write acc17, 0x0                         // initC
v_accvgpr_write acc18, 0x0                         // initC
v_accvgpr_write acc19, 0x0                         // initC
v_accvgpr_write acc20, 0x0                         // initC
v_accvgpr_write acc21, 0x0                         // initC
v_accvgpr_write acc22, 0x0                         // initC
v_accvgpr_write acc23, 0x0                         // initC
v_accvgpr_write acc24, 0x0                         // initC
v_accvgpr_write acc25, 0x0                         // initC
v_accvgpr_write acc26, 0x0                         // initC
v_accvgpr_write acc27, 0x0                         // initC
v_accvgpr_write acc28, 0x0                         // initC
v_accvgpr_write acc29, 0x0                         // initC
v_accvgpr_write acc30, 0x0                         // initC
v_accvgpr_write acc31, 0x0                         // initC
v_accvgpr_write acc32, 0x0                         // initC
v_accvgpr_write acc33, 0x0                         // initC
v_accvgpr_write acc34, 0x0                         // initC
v_accvgpr_write acc35, 0x0                         // initC
v_accvgpr_write acc36, 0x0                         // initC
v_accvgpr_write acc37, 0x0                         // initC
v_accvgpr_write acc38, 0x0                         // initC
v_accvgpr_write acc39, 0x0                         // initC
v_accvgpr_write acc40, 0x0                         // initC
v_accvgpr_write acc41, 0x0                         // initC
v_accvgpr_write acc42, 0x0                         // initC
v_accvgpr_write acc43, 0x0                         // initC
v_accvgpr_write acc44, 0x0                         // initC
v_accvgpr_write acc45, 0x0                         // initC
v_accvgpr_write acc46, 0x0                         // initC
v_accvgpr_write acc47, 0x0                         // initC
v_accvgpr_write acc48, 0x0                         // initC
v_accvgpr_write acc49, 0x0                         // initC
v_accvgpr_write acc50, 0x0                         // initC
v_accvgpr_write acc51, 0x0                         // initC
v_accvgpr_write acc52, 0x0                         // initC
v_accvgpr_write acc53, 0x0                         // initC
v_accvgpr_write acc54, 0x0                         // initC
v_accvgpr_write acc55, 0x0                         // initC
v_accvgpr_write acc56, 0x0                         // initC
v_accvgpr_write acc57, 0x0                         // initC
v_accvgpr_write acc58, 0x0                         // initC
v_accvgpr_write acc59, 0x0                         // initC
v_accvgpr_write acc60, 0x0                         // initC
v_accvgpr_write acc61, 0x0                         // initC
v_accvgpr_write acc62, 0x0                         // initC
v_accvgpr_write acc63, 0x0                         // initC
v_accvgpr_write acc64, 0x0                         // initC
v_accvgpr_write acc65, 0x0                         // initC
v_accvgpr_write acc66, 0x0                         // initC
v_accvgpr_write acc67, 0x0                         // initC
v_accvgpr_write acc68, 0x0                         // initC
v_accvgpr_write acc69, 0x0                         // initC
v_accvgpr_write acc70, 0x0                         // initC
v_accvgpr_write acc71, 0x0                         // initC
v_accvgpr_write acc72, 0x0                         // initC
v_accvgpr_write acc73, 0x0                         // initC
v_accvgpr_write acc74, 0x0                         // initC
v_accvgpr_write acc75, 0x0                         // initC
v_accvgpr_write acc76, 0x0                         // initC
v_accvgpr_write acc77, 0x0                         // initC
v_accvgpr_write acc78, 0x0                         // initC
v_accvgpr_write acc79, 0x0                         // initC
v_accvgpr_write acc80, 0x0                         // initC
v_accvgpr_write acc81, 0x0                         // initC
v_accvgpr_write acc82, 0x0                         // initC
v_accvgpr_write acc83, 0x0                         // initC
v_accvgpr_write acc84, 0x0                         // initC
v_accvgpr_write acc85, 0x0                         // initC
v_accvgpr_write acc86, 0x0                         // initC
v_accvgpr_write acc87, 0x0                         // initC
v_accvgpr_write acc88, 0x0                         // initC
v_accvgpr_write acc89, 0x0                         // initC
v_accvgpr_write acc90, 0x0                         // initC
v_accvgpr_write acc91, 0x0                         // initC
v_accvgpr_write acc92, 0x0                         // initC
v_accvgpr_write acc93, 0x0                         // initC
v_accvgpr_write acc94, 0x0                         // initC
v_accvgpr_write acc95, 0x0                         // initC
v_accvgpr_write acc96, 0x0                         // initC
v_accvgpr_write acc97, 0x0                         // initC
v_accvgpr_write acc98, 0x0                         // initC
v_accvgpr_write acc99, 0x0                         // initC
v_accvgpr_write acc100, 0x0                        // initC
v_accvgpr_write acc101, 0x0                        // initC
v_accvgpr_write acc102, 0x0                        // initC
v_accvgpr_write acc103, 0x0                        // initC
v_accvgpr_write acc104, 0x0                        // initC
v_accvgpr_write acc105, 0x0                        // initC
v_accvgpr_write acc106, 0x0                        // initC
v_accvgpr_write acc107, 0x0                        // initC
v_accvgpr_write acc108, 0x0                        // initC
v_accvgpr_write acc109, 0x0                        // initC
v_accvgpr_write acc110, 0x0                        // initC
v_accvgpr_write acc111, 0x0                        // initC
v_accvgpr_write acc112, 0x0                        // initC
v_accvgpr_write acc113, 0x0                        // initC
v_accvgpr_write acc114, 0x0                        // initC
v_accvgpr_write acc115, 0x0                        // initC
v_accvgpr_write acc116, 0x0                        // initC
v_accvgpr_write acc117, 0x0                        // initC
v_accvgpr_write acc118, 0x0                        // initC
v_accvgpr_write acc119, 0x0                        // initC
v_accvgpr_write acc120, 0x0                        // initC
v_accvgpr_write acc121, 0x0                        // initC
v_accvgpr_write acc122, 0x0                        // initC
v_accvgpr_write acc123, 0x0                        // initC
v_accvgpr_write acc124, 0x0                        // initC
v_accvgpr_write acc125, 0x0                        // initC
v_accvgpr_write acc126, 0x0                        // initC
v_accvgpr_write acc127, 0x0                        // initC
v_accvgpr_write acc128, 0x0                        // initC
v_accvgpr_write acc129, 0x0                        // initC
v_accvgpr_write acc130, 0x0                        // initC
v_accvgpr_write acc131, 0x0                        // initC
v_accvgpr_write acc132, 0x0                        // initC
v_accvgpr_write acc133, 0x0                        // initC
v_accvgpr_write acc134, 0x0                        // initC
v_accvgpr_write acc135, 0x0                        // initC
v_accvgpr_write acc136, 0x0                        // initC
v_accvgpr_write acc137, 0x0                        // initC
v_accvgpr_write acc138, 0x0                        // initC
v_accvgpr_write acc139, 0x0                        // initC
v_accvgpr_write acc140, 0x0                        // initC
v_accvgpr_write acc141, 0x0                        // initC
v_accvgpr_write acc142, 0x0                        // initC
v_accvgpr_write acc143, 0x0                        // initC
v_accvgpr_write acc144, 0x0                        // initC
v_accvgpr_write acc145, 0x0                        // initC
v_accvgpr_write acc146, 0x0                        // initC
v_accvgpr_write acc147, 0x0                        // initC
v_accvgpr_write acc148, 0x0                        // initC
v_accvgpr_write acc149, 0x0                        // initC
v_accvgpr_write acc150, 0x0                        // initC
v_accvgpr_write acc151, 0x0                        // initC
v_accvgpr_write acc152, 0x0                        // initC
v_accvgpr_write acc153, 0x0                        // initC
v_accvgpr_write acc154, 0x0                        // initC
v_accvgpr_write acc155, 0x0                        // initC
v_accvgpr_write acc156, 0x0                        // initC
v_accvgpr_write acc157, 0x0                        // initC
v_accvgpr_write acc158, 0x0                        // initC
v_accvgpr_write acc159, 0x0                        // initC
v_accvgpr_write acc160, 0x0                        // initC
v_accvgpr_write acc161, 0x0                        // initC
v_accvgpr_write acc162, 0x0                        // initC
v_accvgpr_write acc163, 0x0                        // initC
v_accvgpr_write acc164, 0x0                        // initC
v_accvgpr_write acc165, 0x0                        // initC
v_accvgpr_write acc166, 0x0                        // initC
v_accvgpr_write acc167, 0x0                        // initC
v_accvgpr_write acc168, 0x0                        // initC
v_accvgpr_write acc169, 0x0                        // initC
v_accvgpr_write acc170, 0x0                        // initC
v_accvgpr_write acc171, 0x0                        // initC
v_accvgpr_write acc172, 0x0                        // initC
v_accvgpr_write acc173, 0x0                        // initC
v_accvgpr_write acc174, 0x0                        // initC
v_accvgpr_write acc175, 0x0                        // initC
v_accvgpr_write acc176, 0x0                        // initC
v_accvgpr_write acc177, 0x0                        // initC
v_accvgpr_write acc178, 0x0                        // initC
v_accvgpr_write acc179, 0x0                        // initC
v_accvgpr_write acc180, 0x0                        // initC
v_accvgpr_write acc181, 0x0                        // initC
v_accvgpr_write acc182, 0x0                        // initC
v_accvgpr_write acc183, 0x0                        // initC
v_accvgpr_write acc184, 0x0                        // initC
v_accvgpr_write acc185, 0x0                        // initC
v_accvgpr_write acc186, 0x0                        // initC
v_accvgpr_write acc187, 0x0                        // initC
v_accvgpr_write acc188, 0x0                        // initC
v_accvgpr_write acc189, 0x0                        // initC
v_accvgpr_write acc190, 0x0                        // initC
v_accvgpr_write acc191, 0x0                        // initC
v_accvgpr_write acc192, 0x0                        // initC
v_accvgpr_write acc193, 0x0                        // initC
v_accvgpr_write acc194, 0x0                        // initC
v_accvgpr_write acc195, 0x0                        // initC
v_accvgpr_write acc196, 0x0                        // initC
v_accvgpr_write acc197, 0x0                        // initC
v_accvgpr_write acc198, 0x0                        // initC
v_accvgpr_write acc199, 0x0                        // initC
v_accvgpr_write acc200, 0x0                        // initC
v_accvgpr_write acc201, 0x0                        // initC
v_accvgpr_write acc202, 0x0                        // initC
v_accvgpr_write acc203, 0x0                        // initC
v_accvgpr_write acc204, 0x0                        // initC
v_accvgpr_write acc205, 0x0                        // initC
v_accvgpr_write acc206, 0x0                        // initC
v_accvgpr_write acc207, 0x0                        // initC
v_accvgpr_write acc208, 0x0                        // initC
v_accvgpr_write acc209, 0x0                        // initC
v_accvgpr_write acc210, 0x0                        // initC
v_accvgpr_write acc211, 0x0                        // initC
v_accvgpr_write acc212, 0x0                        // initC
v_accvgpr_write acc213, 0x0                        // initC
v_accvgpr_write acc214, 0x0                        // initC
v_accvgpr_write acc215, 0x0                        // initC
v_accvgpr_write acc216, 0x0                        // initC
v_accvgpr_write acc217, 0x0                        // initC
v_accvgpr_write acc218, 0x0                        // initC
v_accvgpr_write acc219, 0x0                        // initC
v_accvgpr_write acc220, 0x0                        // initC
v_accvgpr_write acc221, 0x0                        // initC
v_accvgpr_write acc222, 0x0                        // initC
v_accvgpr_write acc223, 0x0                        // initC
v_accvgpr_write acc224, 0x0                        // initC
v_accvgpr_write acc225, 0x0                        // initC
v_accvgpr_write acc226, 0x0                        // initC
v_accvgpr_write acc227, 0x0                        // initC
v_accvgpr_write acc228, 0x0                        // initC
v_accvgpr_write acc229, 0x0                        // initC
v_accvgpr_write acc230, 0x0                        // initC
v_accvgpr_write acc231, 0x0                        // initC
v_accvgpr_write acc232, 0x0                        // initC
v_accvgpr_write acc233, 0x0                        // initC
v_accvgpr_write acc234, 0x0                        // initC
v_accvgpr_write acc235, 0x0                        // initC
v_accvgpr_write acc236, 0x0                        // initC
v_accvgpr_write acc237, 0x0                        // initC
v_accvgpr_write acc238, 0x0                        // initC
v_accvgpr_write acc239, 0x0                        // initC
v_accvgpr_write acc240, 0x0                        // initC
v_accvgpr_write acc241, 0x0                        // initC
v_accvgpr_write acc242, 0x0                        // initC
v_accvgpr_write acc243, 0x0                        // initC
v_accvgpr_write acc244, 0x0                        // initC
v_accvgpr_write acc245, 0x0                        // initC
v_accvgpr_write acc246, 0x0                        // initC
v_accvgpr_write acc247, 0x0                        // initC
v_accvgpr_write acc248, 0x0                        // initC
v_accvgpr_write acc249, 0x0                        // initC
v_accvgpr_write acc250, 0x0                        // initC
v_accvgpr_write acc251, 0x0                        // initC
v_accvgpr_write acc252, 0x0                        // initC
v_accvgpr_write acc253, 0x0                        // initC
v_accvgpr_write acc254, 0x0                        // initC
v_accvgpr_write acc255, 0x0                        // initC

s_cmp_eq_u32 s[sgprLoopCounterL], 0                // at last iteration?

/* after InitC, skip to end of prefetch last iter if numIter==0 */
s_cbranch_scc0 label_NoBranch_11                   // Only branch on scc1
s_getpc_B64 s[56:57]                               // addr of next instr
s_add_i32 s58, PrefetchGlobalLastIterEnd_5, 0x4    // target branch offset
s_add_u32 s56, s56, s58                            // add target branch offset
s_addc_u32 s57, s57, 0                             // add high and carry
s_setpc_b64 s[56:57]                               // branch to PrefetchGlobalLastIterEnd_5
label_NoBranch_11:

s_waitcnt vmcnt(0)                                 // lgkmcnt=-1 vmcnt=0 8wait for global read


/* local write a */
_ds_store_b128 v[vgprLocalWriteAddrA], v[vgprG2LA+0:vgprG2LA+0+3] offset:0 // lwoA_0_0_0_0 = (0*LSCA) + (0*LSPA)(*MT0I+PAD) = 0
_ds_store_b128 v[vgprLocalWriteAddrA], v[vgprG2LA+4:vgprG2LA+4+3] offset:1024 // lwoA_0_0_1_0 = (0*LSCA) + (1*LSPA)(*MT0I+PAD) = 1024

/* local write b */
_ds_store_b128 v[vgprLocalWriteAddrB], v[vgprG2LB+0:vgprG2LB+0+3] offset:0 // lwoB_0_0_0_0 = (0*LSCB) + (0*LSPB)(*MT1J+PAD) = 0
_ds_store_b128 v[vgprLocalWriteAddrB], v[vgprG2LB+4:vgprG2LB+4+3] offset:1024 // lwoB_0_0_1_0 = (0*LSCB) + (1*LSPB)(*MT1J+PAD) = 1024


/* local write swap a */


/* (EPS=1) local write swap internal offset -> 16384 */


/* local write swap b */


/* (EPS=1) local write swap internal offset -> 16384 */


	;; [unrolled: 1-line block ×3, first 2 shown]
s_waitcnt lgkmcnt(0)                               // lgkmcnt=0 vmcnt=-10prefetch wait for local write

s_waitcnt lgkmcnt(0) & vmcnt(0)                    // force waitcnt0
s_barrier //


/* local read prefetch a */

_ds_load_u16 v[vgprValuA_X0_I0+0], v[vgprLocalReadAddrA] offset:0 // L -> Reg lro=0 swapByteOffset=0 ti=256 vIdx=0 rIdx=0 oIdx=0 buffer=0 iui=0
_ds_load_u16_d16_hi v57, v[vgprLocalReadAddrA] offset:512 // L -> Reg lro=0 swapByteOffset=0 ti=256 vIdx=0 rIdx=1 oIdx=0 buffer=0 iui=0
_ds_load_u16 v[vgprValuA_X0_I0+1], v[vgprLocalReadAddrA] offset:1024 // L -> Reg lro=0 swapByteOffset=0 ti=256 vIdx=0 rIdx=2 oIdx=0 buffer=0 iui=0
_ds_load_u16_d16_hi v58, v[vgprLocalReadAddrA] offset:1536 // L -> Reg lro=0 swapByteOffset=0 ti=256 vIdx=0 rIdx=3 oIdx=0 buffer=0 iui=0
	;; [unrolled: 2-line block ×8, first 2 shown]


/* local read prefetch b */

_ds_load_u16 v[vgprValuB_X0_I0+0], v[vgprLocalReadAddrB] offset:0 // L -> Reg lro=0 swapByteOffset=0 ti=128 vIdx=0 rIdx=0 oIdx=0 buffer=0 iui=0
_ds_load_u16_d16_hi v65, v[vgprLocalReadAddrB] offset:512 // L -> Reg lro=0 swapByteOffset=0 ti=128 vIdx=0 rIdx=1 oIdx=0 buffer=0 iui=0
_ds_load_u16 v[vgprValuB_X0_I0+1], v[vgprLocalReadAddrB] offset:1024 // L -> Reg lro=0 swapByteOffset=0 ti=128 vIdx=0 rIdx=2 oIdx=0 buffer=0 iui=0
_ds_load_u16_d16_hi v66, v[vgprLocalReadAddrB] offset:1536 // L -> Reg lro=0 swapByteOffset=0 ti=128 vIdx=0 rIdx=3 oIdx=0 buffer=0 iui=0
	;; [unrolled: 2-line block ×8, first 2 shown]


/* local read inc a */

/* N/A, lro->2048 */
/* self.localReadDoCntA 1 self.localReadDoCntB 1 */


/* local read inc b */

/* N/A, lro->2048 */
/* self.localReadDoCntA 1 self.localReadDoCntB 1 */


	;; [unrolled: 1-line block ×3, first 2 shown]
/******************************************/
/* Unrolled Loop(s) - Begin               */
/******************************************/

openLoopL_12:
s_cmp_le_u32 s[sgprLoopCounterL], 0x1              // LoopCounterL < EndCounter
s_cbranch_scc1 LoopEndL_2                          // do not enter LoopL
LoopBeginL_1:


/******************************************/
/* Unrolled Loop 1/2 - Begin              */
/******************************************/

label_0013: // LoopCopy1 


/* Begin Each Unroll: Check VGPR.checkin for INT8 LW */


	;; [unrolled: 1-line block ×3, first 2 shown]
/* iter 0 (reset local read pointers iteration)  (swap local read pointers iteration)  */

/*  grEndMfmaIndex:3, lwStartMfmaIndex:20, lwEndMfmaIndex:23  */
/*  numMfmaForLR:6, barrierMfmaIndex:25 */
/*  mfmaIndex:0  */
_buffer_load_b128 v[vgprG2LA+0:vgprG2LA+0+3], v[vgprGlobalReadOffsetA+0], s[sgprSrdA:sgprSrdA+3], 0, offen offset:0 // G -> Reg 0_0_0_0
s_waitcnt lgkmcnt(0)                               // lgkmcnt=0 vmcnt=-1wait for prior local read local write old=0, new=0 newLW=0 newLR=0
/* pack scheduling: packAIdx:2, packBIdx:2 */
v_or_b32 v[vgprValuA_X0_I0+0], v[vgprValuA_X0_I0+0], v57 // pack two half Vgpr to one Vgpr
v_or_b32 v[vgprValuA_X0_I0+1], v[vgprValuA_X0_I0+1], v58 // pack two half Vgpr to one Vgpr
v_or_b32 v[vgprValuB_X0_I0+0], v[vgprValuB_X0_I0+0], v65 // pack two half Vgpr to one Vgpr
v_or_b32 v[vgprValuB_X0_I0+1], v[vgprValuB_X0_I0+1], v66 // pack two half Vgpr to one Vgpr
v_or_b32 v[vgprValuA_X0_I0+2], v[vgprValuA_X0_I0+2], v59 // pack two half Vgpr to one Vgpr
v_or_b32 v[vgprValuA_X0_I0+3], v[vgprValuA_X0_I0+3], v60 // pack two half Vgpr to one Vgpr
v_mfma_f32_32x32x8f16 a[0+0:15+0], v[vgprValuB_X0_I0+0+0+0:vgprValuB_X0_I0+0+0+0+1], v[vgprValuA_X0_I0+0+0+0:vgprValuA_X0_I0+0+0+0+1], a[0:15]
/*  mfmaIndex:1  */
_ds_load_u16 v[vgprValuA_X1_I0+0], v[vgprLocalReadAddrA] offset:4096 // L -> Reg lro=2048 swapByteOffset=0 ti=256 vIdx=0 rIdx=0 oIdx=0 buffer=1 iui=0
_ds_load_u16_d16_hi v73, v[vgprLocalReadAddrA] offset:4608 // L -> Reg lro=2048 swapByteOffset=0 ti=256 vIdx=0 rIdx=1 oIdx=0 buffer=1 iui=0
_ds_load_u16 v[vgprValuA_X1_I0+1], v[vgprLocalReadAddrA] offset:5120 // L -> Reg lro=2048 swapByteOffset=0 ti=256 vIdx=0 rIdx=2 oIdx=0 buffer=1 iui=0
_ds_load_u16_d16_hi v74, v[vgprLocalReadAddrA] offset:5632 // L -> Reg lro=2048 swapByteOffset=0 ti=256 vIdx=0 rIdx=3 oIdx=0 buffer=1 iui=0
_ds_load_u16 v[vgprValuB_X1_I0+0], v[vgprLocalReadAddrB] offset:4096 // L -> Reg lro=2048 swapByteOffset=0 ti=128 vIdx=0 rIdx=0 oIdx=0 buffer=1 iui=0
_ds_load_u16_d16_hi v81, v[vgprLocalReadAddrB] offset:4608 // L -> Reg lro=2048 swapByteOffset=0 ti=128 vIdx=0 rIdx=1 oIdx=0 buffer=1 iui=0
_buffer_load_b128 v[vgprG2LA+4:vgprG2LA+4+3], v[vgprGlobalReadOffsetA+1], s[sgprSrdA:sgprSrdA+3], 0, offen offset:0 // G -> Reg 0_0_1_0
/* pack scheduling: packAIdx:4, packBIdx:2 */
v_or_b32 v[vgprValuA_X0_I0+4], v[vgprValuA_X0_I0+4], v61 // pack two half Vgpr to one Vgpr
v_or_b32 v[vgprValuA_X0_I0+5], v[vgprValuA_X0_I0+5], v62 // pack two half Vgpr to one Vgpr
	;; [unrolled: 1-line block ×4, first 2 shown]
v_mfma_f32_32x32x8f16 a[16+0:31+0], v[vgprValuB_X0_I0+0+0+0:vgprValuB_X0_I0+0+0+0+1], v[vgprValuA_X0_I0+2+0+0:vgprValuA_X0_I0+2+0+0+1], a[16:31]
/*  mfmaIndex:2  */
_ds_load_u16 v[vgprValuB_X1_I0+1], v[vgprLocalReadAddrB] offset:5120 // L -> Reg lro=2048 swapByteOffset=0 ti=128 vIdx=0 rIdx=2 oIdx=0 buffer=1 iui=0
_ds_load_u16_d16_hi v82, v[vgprLocalReadAddrB] offset:5632 // L -> Reg lro=2048 swapByteOffset=0 ti=128 vIdx=0 rIdx=3 oIdx=0 buffer=1 iui=0
_ds_load_u16 v[vgprValuA_X1_I0+2], v[vgprLocalReadAddrA] offset:4098 // L -> Reg lro=2048 swapByteOffset=0 ti=256 vIdx=0 rIdx=0 oIdx=0 buffer=1 iui=0
_ds_load_u16_d16_hi v75, v[vgprLocalReadAddrA] offset:4610 // L -> Reg lro=2048 swapByteOffset=0 ti=256 vIdx=0 rIdx=1 oIdx=0 buffer=1 iui=0
_ds_load_u16 v[vgprValuA_X1_I0+3], v[vgprLocalReadAddrA] offset:5122 // L -> Reg lro=2048 swapByteOffset=0 ti=256 vIdx=0 rIdx=2 oIdx=0 buffer=1 iui=0
_ds_load_u16_d16_hi v76, v[vgprLocalReadAddrA] offset:5634 // L -> Reg lro=2048 swapByteOffset=0 ti=256 vIdx=0 rIdx=3 oIdx=0 buffer=1 iui=0
_buffer_load_b128 v[vgprG2LB+0:vgprG2LB+0+3], v[vgprGlobalReadOffsetB+0], s[sgprSrdB:sgprSrdB+3], 0, offen offset:0 // G -> Reg 0_0_0_0
/* pack scheduling: packAIdx:6, packBIdx:2 */
v_or_b32 v[vgprValuB_X0_I0+2], v[vgprValuB_X0_I0+2], v67 // pack two half Vgpr to one Vgpr
v_or_b32 v[vgprValuB_X0_I0+3], v[vgprValuB_X0_I0+3], v68 // pack two half Vgpr to one Vgpr
v_or_b32 v[vgprValuB_X0_I0+4], v[vgprValuB_X0_I0+4], v69 // pack two half Vgpr to one Vgpr
v_or_b32 v[vgprValuB_X0_I0+5], v[vgprValuB_X0_I0+5], v70 // pack two half Vgpr to one Vgpr
v_mfma_f32_32x32x8f16 a[32+0:47+0], v[vgprValuB_X0_I0+0+0+0:vgprValuB_X0_I0+0+0+0+1], v[vgprValuA_X0_I0+4+0+0:vgprValuA_X0_I0+4+0+0+1], a[32:47]
/*  mfmaIndex:3  */
_ds_load_u16 v[vgprValuA_X1_I0+4], v[vgprLocalReadAddrA] offset:4100 // L -> Reg lro=2048 swapByteOffset=0 ti=256 vIdx=0 rIdx=0 oIdx=0 buffer=1 iui=0
_ds_load_u16_d16_hi v77, v[vgprLocalReadAddrA] offset:4612 // L -> Reg lro=2048 swapByteOffset=0 ti=256 vIdx=0 rIdx=1 oIdx=0 buffer=1 iui=0
_ds_load_u16 v[vgprValuA_X1_I0+5], v[vgprLocalReadAddrA] offset:5124 // L -> Reg lro=2048 swapByteOffset=0 ti=256 vIdx=0 rIdx=2 oIdx=0 buffer=1 iui=0
_ds_load_u16_d16_hi v78, v[vgprLocalReadAddrA] offset:5636 // L -> Reg lro=2048 swapByteOffset=0 ti=256 vIdx=0 rIdx=3 oIdx=0 buffer=1 iui=0
	;; [unrolled: 2-line block ×3, first 2 shown]
_buffer_load_b128 v[vgprG2LB+4:vgprG2LB+4+3], v[vgprGlobalReadOffsetB+1], s[sgprSrdB:sgprSrdB+3], 0, offen offset:0 // G -> Reg 0_0_1_0
/* pack scheduling: packAIdx:8, packBIdx:2 */
v_or_b32 v[vgprValuB_X0_I0+6], v[vgprValuB_X0_I0+6], v71 // pack two half Vgpr to one Vgpr
v_or_b32 v[vgprValuB_X0_I0+7], v[vgprValuB_X0_I0+7], v72 // pack two half Vgpr to one Vgpr
v_mfma_f32_32x32x8f16 a[48+0:63+0], v[vgprValuB_X0_I0+0+0+0:vgprValuB_X0_I0+0+0+0+1], v[vgprValuA_X0_I0+6+0+0:vgprValuA_X0_I0+6+0+0+1], a[48:63]
/*  mfmaIndex:4  */
_ds_load_u16 v[vgprValuA_X1_I0+7], v[vgprLocalReadAddrA] offset:5126 // L -> Reg lro=2048 swapByteOffset=0 ti=256 vIdx=0 rIdx=2 oIdx=0 buffer=1 iui=0
_ds_load_u16_d16_hi v80, v[vgprLocalReadAddrA] offset:5638 // L -> Reg lro=2048 swapByteOffset=0 ti=256 vIdx=0 rIdx=3 oIdx=0 buffer=1 iui=0
_ds_load_u16 v[vgprValuB_X1_I0+2], v[vgprLocalReadAddrB] offset:4098 // L -> Reg lro=2048 swapByteOffset=0 ti=128 vIdx=0 rIdx=0 oIdx=0 buffer=1 iui=0
_ds_load_u16_d16_hi v83, v[vgprLocalReadAddrB] offset:4610 // L -> Reg lro=2048 swapByteOffset=0 ti=128 vIdx=0 rIdx=1 oIdx=0 buffer=1 iui=0
_ds_load_u16 v[vgprValuB_X1_I0+3], v[vgprLocalReadAddrB] offset:5122 // L -> Reg lro=2048 swapByteOffset=0 ti=128 vIdx=0 rIdx=2 oIdx=0 buffer=1 iui=0
_ds_load_u16_d16_hi v84, v[vgprLocalReadAddrB] offset:5634 // L -> Reg lro=2048 swapByteOffset=0 ti=128 vIdx=0 rIdx=3 oIdx=0 buffer=1 iui=0

/* global read inc A loopL */
s_cmp_eq_u32 s[sgprLoopCounterL], s[sgprStaggerUIter] // Is this the wrapIter?
s_cselect_b32 s56, s[sgprWrapUA+0], s[sgprGlobalReadIncsA+0] // incLower <- ?
s_cselect_b32 s57, s[sgprWrapUA+1], 0              // incUpper <- ?
s_add_u32 s[sgprSrdA+0], s[sgprSrdA+0], s56        // gra SRD += inc(lower)
s_addc_u32  s[sgprSrdA+1], s[sgprSrdA+1], s57      // gra SRD += inc(upper)
s_sub_u32 s[sgprShadowLimitA+0], s[sgprShadowLimitA+0], s56 // limit -= inc)
s_subb_u32 s[sgprShadowLimitA+1], s[sgprShadowLimitA+1], s57 // limit -= inc)
v_mfma_f32_32x32x8f16 a[112+0:127+0], v[vgprValuB_X0_I0+2+0+0:vgprValuB_X0_I0+2+0+0+1], v[vgprValuA_X0_I0+6+0+0:vgprValuA_X0_I0+6+0+0+1], a[112:127]
/*  mfmaIndex:5  */
_ds_load_u16 v[vgprValuB_X1_I0+4], v[vgprLocalReadAddrB] offset:4352 // L -> Reg lro=2048 swapByteOffset=0 ti=128 vIdx=1 rIdx=0 oIdx=0 buffer=1 iui=0
_ds_load_u16_d16_hi v85, v[vgprLocalReadAddrB] offset:4864 // L -> Reg lro=2048 swapByteOffset=0 ti=128 vIdx=1 rIdx=1 oIdx=0 buffer=1 iui=0
_ds_load_u16 v[vgprValuB_X1_I0+5], v[vgprLocalReadAddrB] offset:5376 // L -> Reg lro=2048 swapByteOffset=0 ti=128 vIdx=1 rIdx=2 oIdx=0 buffer=1 iui=0
_ds_load_u16_d16_hi v86, v[vgprLocalReadAddrB] offset:5888 // L -> Reg lro=2048 swapByteOffset=0 ti=128 vIdx=1 rIdx=3 oIdx=0 buffer=1 iui=0
	;; [unrolled: 2-line block ×3, first 2 shown]
s_cmp_eq_u32 s[sgprShadowLimitA+1], 0              // are we within 2^32?
s_cselect_b32 s[sgprSrdA+2], s[sgprShadowLimitA+0], BufferLimitA // Move shadow to real if we are within 2^32

/* global read inc B loopL */
s_cmp_eq_u32 s[sgprLoopCounterL], s[sgprStaggerUIter] // Is this the wrapIter?
s_cselect_b32 s56, s[sgprWrapUB+0], s[sgprGlobalReadIncsB+0] // incLower <- ?
s_cselect_b32 s57, s[sgprWrapUB+1], 0              // incUpper <- ?
s_add_u32 s[sgprSrdB+0], s[sgprSrdB+0], s56        // gra SRD += inc(lower)
s_addc_u32  s[sgprSrdB+1], s[sgprSrdB+1], s57      // gra SRD += inc(upper)
v_mfma_f32_32x32x8f16 a[96+0:111+0], v[vgprValuB_X0_I0+2+0+0:vgprValuB_X0_I0+2+0+0+1], v[vgprValuA_X0_I0+4+0+0:vgprValuA_X0_I0+4+0+0+1], a[96:111]
/*  mfmaIndex:6  */
_ds_load_u16 v[vgprValuB_X1_I0+7], v[vgprLocalReadAddrB] offset:5378 // L -> Reg lro=2048 swapByteOffset=0 ti=128 vIdx=1 rIdx=2 oIdx=0 buffer=1 iui=0
_ds_load_u16_d16_hi v88, v[vgprLocalReadAddrB] offset:5890 // L -> Reg lro=2048 swapByteOffset=0 ti=128 vIdx=1 rIdx=3 oIdx=0 buffer=1 iui=0
/* localReadsVacancy: latencyLeft 9 */
s_sub_u32 s[sgprShadowLimitB+0], s[sgprShadowLimitB+0], s56 // limit -= inc)
s_subb_u32 s[sgprShadowLimitB+1], s[sgprShadowLimitB+1], s57 // limit -= inc)
s_cmp_eq_u32 s[sgprShadowLimitB+1], 0              // are we within 2^32?
s_cselect_b32 s[sgprSrdB+2], s[sgprShadowLimitB+0], BufferLimitB // Move shadow to real if we are within 2^32
v_mfma_f32_32x32x8f16 a[80+0:95+0], v[vgprValuB_X0_I0+2+0+0:vgprValuB_X0_I0+2+0+0+1], v[vgprValuA_X0_I0+2+0+0:vgprValuA_X0_I0+2+0+0+1], a[80:95]
/*  mfmaIndex:7  */
/* localReadsVacancy: latencyLeft 13 */
v_mfma_f32_32x32x8f16 a[64+0:79+0], v[vgprValuB_X0_I0+2+0+0:vgprValuB_X0_I0+2+0+0+1], v[vgprValuA_X0_I0+0+0+0:vgprValuA_X0_I0+0+0+0+1], a[64:79]
/*  mfmaIndex:8  */
/* localReadsVacancy: latencyLeft 13 */
	;; [unrolled: 3-line block ×9, first 2 shown]

/* local read swap offsets a */

/* local read swap internal offset -> 16384 */

/* local read swap offsets b */

/* local read swap internal offset -> 16384 */

/* local read init pointers a */

/* localReadInitPointers */

/* local read init pointers b */

/* localReadInitPointers */
v_mfma_f32_32x32x8f16 a[192+0:207+0], v[vgprValuB_X0_I0+6+0+0:vgprValuB_X0_I0+6+0+0+1], v[vgprValuA_X0_I0+0+0+0:vgprValuA_X0_I0+0+0+0+1], a[192:207]
/* numPrefetchIter=0 */
/* dataAtIterA=-1 numReadsIterA=1 skipReadsIterA=1 readsPerIterA=16 */
/* dataAtIterB=-1 numReadsIterB=1 skipReadsIterB=1 readsPerIterB=16 */


/* iter 1 (swap and reset local write pointers iteration)  */

/*  grEndMfmaIndex:3, lwStartMfmaIndex:20, lwEndMfmaIndex:23  */
/*  numMfmaForLR:6, barrierMfmaIndex:25 */
/*  mfmaIndex:16  */
s_waitcnt lgkmcnt(0)                               // lgkmcnt=0 vmcnt=-1wait for prior local read local write old=0, new=0 newLW=0 newLR=0
/* pack scheduling: packAIdx:2, packBIdx:2 */
v_or_b32 v[vgprValuA_X1_I0+0], v[vgprValuA_X1_I0+0], v73 // pack two half Vgpr to one Vgpr
v_or_b32 v[vgprValuA_X1_I0+1], v[vgprValuA_X1_I0+1], v74 // pack two half Vgpr to one Vgpr
v_or_b32 v[vgprValuB_X1_I0+0], v[vgprValuB_X1_I0+0], v81 // pack two half Vgpr to one Vgpr
v_or_b32 v[vgprValuB_X1_I0+1], v[vgprValuB_X1_I0+1], v82 // pack two half Vgpr to one Vgpr
v_or_b32 v[vgprValuA_X1_I0+2], v[vgprValuA_X1_I0+2], v75 // pack two half Vgpr to one Vgpr
v_or_b32 v[vgprValuA_X1_I0+3], v[vgprValuA_X1_I0+3], v76 // pack two half Vgpr to one Vgpr
v_mfma_f32_32x32x8f16 a[0+0:15+0], v[vgprValuB_X1_I0+0+0+0:vgprValuB_X1_I0+0+0+0+1], v[vgprValuA_X1_I0+0+0+0:vgprValuA_X1_I0+0+0+0+1], a[0:15]
/*  mfmaIndex:17  */
/* pack scheduling: packAIdx:4, packBIdx:2 */
v_or_b32 v[vgprValuA_X1_I0+4], v[vgprValuA_X1_I0+4], v77 // pack two half Vgpr to one Vgpr
v_or_b32 v[vgprValuA_X1_I0+5], v[vgprValuA_X1_I0+5], v78 // pack two half Vgpr to one Vgpr
	;; [unrolled: 1-line block ×4, first 2 shown]
v_mfma_f32_32x32x8f16 a[16+0:31+0], v[vgprValuB_X1_I0+0+0+0:vgprValuB_X1_I0+0+0+0+1], v[vgprValuA_X1_I0+2+0+0:vgprValuA_X1_I0+2+0+0+1], a[16:31]
/*  mfmaIndex:18  */
/* pack scheduling: packAIdx:6, packBIdx:2 */
v_or_b32 v[vgprValuB_X1_I0+2], v[vgprValuB_X1_I0+2], v83 // pack two half Vgpr to one Vgpr
v_or_b32 v[vgprValuB_X1_I0+3], v[vgprValuB_X1_I0+3], v84 // pack two half Vgpr to one Vgpr
	;; [unrolled: 1-line block ×4, first 2 shown]
v_mfma_f32_32x32x8f16 a[32+0:47+0], v[vgprValuB_X1_I0+0+0+0:vgprValuB_X1_I0+0+0+0+1], v[vgprValuA_X1_I0+4+0+0:vgprValuA_X1_I0+4+0+0+1], a[32:47]
/*  mfmaIndex:19  */
/* pack scheduling: packAIdx:8, packBIdx:2 */
v_or_b32 v[vgprValuB_X1_I0+6], v[vgprValuB_X1_I0+6], v87 // pack two half Vgpr to one Vgpr
v_or_b32 v[vgprValuB_X1_I0+7], v[vgprValuB_X1_I0+7], v88 // pack two half Vgpr to one Vgpr
v_mfma_f32_32x32x8f16 a[48+0:63+0], v[vgprValuB_X1_I0+0+0+0:vgprValuB_X1_I0+0+0+0+1], v[vgprValuA_X1_I0+6+0+0:vgprValuA_X1_I0+6+0+0+1], a[48:63]
/*  mfmaIndex:20  */
/* sched write - iter 1 writesPerItem=1 */
s_waitcnt vmcnt(0)                                 // lgkmcnt=-1 vmcnt=0wait for global read before writing to local
_ds_store_b128 v[vgprLocalWriteAddrA], v[vgprG2LA+0:vgprG2LA+0+3] offset:16384 // lwoA_0_0_0_0 = (0*LSCA) + (0*LSPA)(*MT0I+PAD) = 16384
v_mfma_f32_32x32x8f16 a[112+0:127+0], v[vgprValuB_X1_I0+2+0+0:vgprValuB_X1_I0+2+0+0+1], v[vgprValuA_X1_I0+6+0+0:vgprValuA_X1_I0+6+0+0+1], a[112:127]
/*  mfmaIndex:21  */
/* sched write - iter 1 writesPerItem=1 */
s_waitcnt vmcnt(0)                                 // lgkmcnt=-1 vmcnt=0wait for global read before writing to local
_ds_store_b128 v[vgprLocalWriteAddrA], v[vgprG2LA+4:vgprG2LA+4+3] offset:17408 // lwoA_0_0_1_0 = (0*LSCA) + (1*LSPA)(*MT0I+PAD) = 17408
v_mfma_f32_32x32x8f16 a[96+0:111+0], v[vgprValuB_X1_I0+2+0+0:vgprValuB_X1_I0+2+0+0+1], v[vgprValuA_X1_I0+4+0+0:vgprValuA_X1_I0+4+0+0+1], a[96:111]
/*  mfmaIndex:22  */
/* sched write - iter 1 writesPerItem=1 */
s_waitcnt vmcnt(0)                                 // lgkmcnt=-1 vmcnt=0wait for global read before writing to local
_ds_store_b128 v[vgprLocalWriteAddrB], v[vgprG2LB+0:vgprG2LB+0+3] offset:16384 // lwoB_0_0_0_0 = (0*LSCB) + (0*LSPB)(*MT1J+PAD) = 16384
v_mfma_f32_32x32x8f16 a[80+0:95+0], v[vgprValuB_X1_I0+2+0+0:vgprValuB_X1_I0+2+0+0+1], v[vgprValuA_X1_I0+2+0+0:vgprValuA_X1_I0+2+0+0+1], a[80:95]
/*  mfmaIndex:23  */
/* sched write - iter 1 writesPerItem=1 */
s_waitcnt vmcnt(0)                                 // lgkmcnt=-1 vmcnt=0wait for global read before writing to local
_ds_store_b128 v[vgprLocalWriteAddrB], v[vgprG2LB+4:vgprG2LB+4+3] offset:17408 // lwoB_0_0_1_0 = (0*LSCB) + (1*LSPB)(*MT1J+PAD) = 17408

/* local write swap offsets a */

/* (EPS=1) local write swap internal offset -> 0 */

/* local write swap offsets b */

/* (EPS=1) local write swap internal offset -> 0 */
v_mfma_f32_32x32x8f16 a[64+0:79+0], v[vgprValuB_X1_I0+2+0+0:vgprValuB_X1_I0+2+0+0+1], v[vgprValuA_X1_I0+0+0+0:vgprValuA_X1_I0+0+0+0+1], a[64:79]
/*  mfmaIndex:24  */
v_mfma_f32_32x32x8f16 a[128+0:143+0], v[vgprValuB_X1_I0+4+0+0:vgprValuB_X1_I0+4+0+0+1], v[vgprValuA_X1_I0+0+0+0:vgprValuA_X1_I0+0+0+0+1], a[128:143]
/*  mfmaIndex:25  */
s_waitcnt lgkmcnt(0)                               // lgkmcnt=0 vmcnt=-13wait for local write
s_waitcnt lgkmcnt(0) & vmcnt(0)                    // force waitcnt0
s_barrier //
v_mfma_f32_32x32x8f16 a[144+0:159+0], v[vgprValuB_X1_I0+4+0+0:vgprValuB_X1_I0+4+0+0+1], v[vgprValuA_X1_I0+2+0+0:vgprValuA_X1_I0+2+0+0+1], a[144:159]
/*  mfmaIndex:26  */
_ds_load_u16 v[vgprValuA_X0_I0+0], v[vgprLocalReadAddrA] offset:16384 // L -> Reg lro=0 swapByteOffset=16384 ti=256 vIdx=0 rIdx=0 oIdx=0 buffer=0 iui=0
_ds_load_u16_d16_hi v57, v[vgprLocalReadAddrA] offset:16896 // L -> Reg lro=0 swapByteOffset=16384 ti=256 vIdx=0 rIdx=1 oIdx=0 buffer=0 iui=0
_ds_load_u16 v[vgprValuA_X0_I0+1], v[vgprLocalReadAddrA] offset:17408 // L -> Reg lro=0 swapByteOffset=16384 ti=256 vIdx=0 rIdx=2 oIdx=0 buffer=0 iui=0
_ds_load_u16_d16_hi v58, v[vgprLocalReadAddrA] offset:17920 // L -> Reg lro=0 swapByteOffset=16384 ti=256 vIdx=0 rIdx=3 oIdx=0 buffer=0 iui=0
_ds_load_u16 v[vgprValuB_X0_I0+0], v[vgprLocalReadAddrB] offset:16384 // L -> Reg lro=0 swapByteOffset=16384 ti=128 vIdx=0 rIdx=0 oIdx=0 buffer=0 iui=0
_ds_load_u16_d16_hi v65, v[vgprLocalReadAddrB] offset:16896 // L -> Reg lro=0 swapByteOffset=16384 ti=128 vIdx=0 rIdx=1 oIdx=0 buffer=0 iui=0
v_mfma_f32_32x32x8f16 a[160+0:175+0], v[vgprValuB_X1_I0+4+0+0:vgprValuB_X1_I0+4+0+0+1], v[vgprValuA_X1_I0+4+0+0:vgprValuA_X1_I0+4+0+0+1], a[160:175]
/*  mfmaIndex:27  */
_ds_load_u16 v[vgprValuB_X0_I0+1], v[vgprLocalReadAddrB] offset:17408 // L -> Reg lro=0 swapByteOffset=16384 ti=128 vIdx=0 rIdx=2 oIdx=0 buffer=0 iui=0
_ds_load_u16_d16_hi v66, v[vgprLocalReadAddrB] offset:17920 // L -> Reg lro=0 swapByteOffset=16384 ti=128 vIdx=0 rIdx=3 oIdx=0 buffer=0 iui=0
_ds_load_u16 v[vgprValuA_X0_I0+2], v[vgprLocalReadAddrA] offset:16386 // L -> Reg lro=0 swapByteOffset=16384 ti=256 vIdx=0 rIdx=0 oIdx=0 buffer=0 iui=0
_ds_load_u16_d16_hi v59, v[vgprLocalReadAddrA] offset:16898 // L -> Reg lro=0 swapByteOffset=16384 ti=256 vIdx=0 rIdx=1 oIdx=0 buffer=0 iui=0
_ds_load_u16 v[vgprValuA_X0_I0+3], v[vgprLocalReadAddrA] offset:17410 // L -> Reg lro=0 swapByteOffset=16384 ti=256 vIdx=0 rIdx=2 oIdx=0 buffer=0 iui=0
_ds_load_u16_d16_hi v60, v[vgprLocalReadAddrA] offset:17922 // L -> Reg lro=0 swapByteOffset=16384 ti=256 vIdx=0 rIdx=3 oIdx=0 buffer=0 iui=0
v_mfma_f32_32x32x8f16 a[176+0:191+0], v[vgprValuB_X1_I0+4+0+0:vgprValuB_X1_I0+4+0+0+1], v[vgprValuA_X1_I0+6+0+0:vgprValuA_X1_I0+6+0+0+1], a[176:191]
/*  mfmaIndex:28  */
_ds_load_u16 v[vgprValuA_X0_I0+4], v[vgprLocalReadAddrA] offset:16388 // L -> Reg lro=0 swapByteOffset=16384 ti=256 vIdx=0 rIdx=0 oIdx=0 buffer=0 iui=0
_ds_load_u16_d16_hi v61, v[vgprLocalReadAddrA] offset:16900 // L -> Reg lro=0 swapByteOffset=16384 ti=256 vIdx=0 rIdx=1 oIdx=0 buffer=0 iui=0
_ds_load_u16 v[vgprValuA_X0_I0+5], v[vgprLocalReadAddrA] offset:17412 // L -> Reg lro=0 swapByteOffset=16384 ti=256 vIdx=0 rIdx=2 oIdx=0 buffer=0 iui=0
_ds_load_u16_d16_hi v62, v[vgprLocalReadAddrA] offset:17924 // L -> Reg lro=0 swapByteOffset=16384 ti=256 vIdx=0 rIdx=3 oIdx=0 buffer=0 iui=0
	;; [unrolled: 2-line block ×3, first 2 shown]
v_mfma_f32_32x32x8f16 a[240+0:255+0], v[vgprValuB_X1_I0+6+0+0:vgprValuB_X1_I0+6+0+0+1], v[vgprValuA_X1_I0+6+0+0:vgprValuA_X1_I0+6+0+0+1], a[240:255]
/*  mfmaIndex:29  */
_ds_load_u16 v[vgprValuA_X0_I0+7], v[vgprLocalReadAddrA] offset:17414 // L -> Reg lro=0 swapByteOffset=16384 ti=256 vIdx=0 rIdx=2 oIdx=0 buffer=0 iui=0
_ds_load_u16_d16_hi v64, v[vgprLocalReadAddrA] offset:17926 // L -> Reg lro=0 swapByteOffset=16384 ti=256 vIdx=0 rIdx=3 oIdx=0 buffer=0 iui=0
_ds_load_u16 v[vgprValuB_X0_I0+2], v[vgprLocalReadAddrB] offset:16386 // L -> Reg lro=0 swapByteOffset=16384 ti=128 vIdx=0 rIdx=0 oIdx=0 buffer=0 iui=0
_ds_load_u16_d16_hi v67, v[vgprLocalReadAddrB] offset:16898 // L -> Reg lro=0 swapByteOffset=16384 ti=128 vIdx=0 rIdx=1 oIdx=0 buffer=0 iui=0
_ds_load_u16 v[vgprValuB_X0_I0+3], v[vgprLocalReadAddrB] offset:17410 // L -> Reg lro=0 swapByteOffset=16384 ti=128 vIdx=0 rIdx=2 oIdx=0 buffer=0 iui=0
_ds_load_u16_d16_hi v68, v[vgprLocalReadAddrB] offset:17922 // L -> Reg lro=0 swapByteOffset=16384 ti=128 vIdx=0 rIdx=3 oIdx=0 buffer=0 iui=0
v_mfma_f32_32x32x8f16 a[224+0:239+0], v[vgprValuB_X1_I0+6+0+0:vgprValuB_X1_I0+6+0+0+1], v[vgprValuA_X1_I0+4+0+0:vgprValuA_X1_I0+4+0+0+1], a[224:239]
/*  mfmaIndex:30  */
_ds_load_u16 v[vgprValuB_X0_I0+4], v[vgprLocalReadAddrB] offset:16640 // L -> Reg lro=0 swapByteOffset=16384 ti=128 vIdx=1 rIdx=0 oIdx=0 buffer=0 iui=0
_ds_load_u16_d16_hi v69, v[vgprLocalReadAddrB] offset:17152 // L -> Reg lro=0 swapByteOffset=16384 ti=128 vIdx=1 rIdx=1 oIdx=0 buffer=0 iui=0
_ds_load_u16 v[vgprValuB_X0_I0+5], v[vgprLocalReadAddrB] offset:17664 // L -> Reg lro=0 swapByteOffset=16384 ti=128 vIdx=1 rIdx=2 oIdx=0 buffer=0 iui=0
_ds_load_u16_d16_hi v70, v[vgprLocalReadAddrB] offset:18176 // L -> Reg lro=0 swapByteOffset=16384 ti=128 vIdx=1 rIdx=3 oIdx=0 buffer=0 iui=0
	;; [unrolled: 2-line block ×3, first 2 shown]
v_mfma_f32_32x32x8f16 a[208+0:223+0], v[vgprValuB_X1_I0+6+0+0:vgprValuB_X1_I0+6+0+0+1], v[vgprValuA_X1_I0+2+0+0:vgprValuA_X1_I0+2+0+0+1], a[208:223]
/*  mfmaIndex:31  */
_ds_load_u16 v[vgprValuB_X0_I0+7], v[vgprLocalReadAddrB] offset:17666 // L -> Reg lro=0 swapByteOffset=16384 ti=128 vIdx=1 rIdx=2 oIdx=0 buffer=0 iui=0
_ds_load_u16_d16_hi v72, v[vgprLocalReadAddrB] offset:18178 // L -> Reg lro=0 swapByteOffset=16384 ti=128 vIdx=1 rIdx=3 oIdx=0 buffer=0 iui=0
v_mfma_f32_32x32x8f16 a[192+0:207+0], v[vgprValuB_X1_I0+6+0+0:vgprValuB_X1_I0+6+0+0+1], v[vgprValuA_X1_I0+0+0+0:vgprValuA_X1_I0+0+0+0+1], a[192:207]
/* numPrefetchIter=1 */
/* dataAtIterA=0 numReadsIterA=1 skipReadsIterA=1 readsPerIterA=16 */
/* dataAtIterB=0 numReadsIterB=1 skipReadsIterB=1 readsPerIterB=16 */


/******************************************/
/* Unrolled Loop - End 1/2                */
/******************************************/


/* closeLoop loopL finalLoop=0 tailLoop=0 */
s_sub_u32 s[sgprLoopCounterL], s[sgprLoopCounterL], 1 // dec counterL
s_cmp_eq_i32 s[sgprLoopCounterL], 0x1              // counterL==1
s_cbranch_scc1 LoopEndL_oddexit_3                  // exit LoopL


/******************************************/
/* Unrolled Loop 2/2 - Begin              */
/******************************************/

label_0014: // LoopCopy2 


/* Begin Each Unroll: Check VGPR.checkin for INT8 LW */


	;; [unrolled: 1-line block ×3, first 2 shown]
/* iter 0 (reset local read pointers iteration)  (swap local read pointers iteration)  */

/*  grEndMfmaIndex:3, lwStartMfmaIndex:20, lwEndMfmaIndex:23  */
/*  numMfmaForLR:6, barrierMfmaIndex:25 */
/*  mfmaIndex:0  */
_buffer_load_b128 v[vgprG2LA+0:vgprG2LA+0+3], v[vgprGlobalReadOffsetA+0], s[sgprSrdA:sgprSrdA+3], 0, offen offset:0 // G -> Reg 0_0_0_0
s_waitcnt lgkmcnt(0)                               // lgkmcnt=0 vmcnt=-1wait for prior local read local write old=0, new=0 newLW=0 newLR=0
/* pack scheduling: packAIdx:2, packBIdx:2 */
v_or_b32 v[vgprValuA_X0_I0+0], v[vgprValuA_X0_I0+0], v57 // pack two half Vgpr to one Vgpr
v_or_b32 v[vgprValuA_X0_I0+1], v[vgprValuA_X0_I0+1], v58 // pack two half Vgpr to one Vgpr
v_or_b32 v[vgprValuB_X0_I0+0], v[vgprValuB_X0_I0+0], v65 // pack two half Vgpr to one Vgpr
v_or_b32 v[vgprValuB_X0_I0+1], v[vgprValuB_X0_I0+1], v66 // pack two half Vgpr to one Vgpr
v_or_b32 v[vgprValuA_X0_I0+2], v[vgprValuA_X0_I0+2], v59 // pack two half Vgpr to one Vgpr
v_or_b32 v[vgprValuA_X0_I0+3], v[vgprValuA_X0_I0+3], v60 // pack two half Vgpr to one Vgpr
v_mfma_f32_32x32x8f16 a[0+0:15+0], v[vgprValuB_X0_I0+0+0+0:vgprValuB_X0_I0+0+0+0+1], v[vgprValuA_X0_I0+0+0+0:vgprValuA_X0_I0+0+0+0+1], a[0:15]
/*  mfmaIndex:1  */
_ds_load_u16 v[vgprValuA_X1_I0+0], v[vgprLocalReadAddrA] offset:20480 // L -> Reg lro=2048 swapByteOffset=16384 ti=256 vIdx=0 rIdx=0 oIdx=0 buffer=1 iui=0
_ds_load_u16_d16_hi v73, v[vgprLocalReadAddrA] offset:20992 // L -> Reg lro=2048 swapByteOffset=16384 ti=256 vIdx=0 rIdx=1 oIdx=0 buffer=1 iui=0
_ds_load_u16 v[vgprValuA_X1_I0+1], v[vgprLocalReadAddrA] offset:21504 // L -> Reg lro=2048 swapByteOffset=16384 ti=256 vIdx=0 rIdx=2 oIdx=0 buffer=1 iui=0
_ds_load_u16_d16_hi v74, v[vgprLocalReadAddrA] offset:22016 // L -> Reg lro=2048 swapByteOffset=16384 ti=256 vIdx=0 rIdx=3 oIdx=0 buffer=1 iui=0
_ds_load_u16 v[vgprValuB_X1_I0+0], v[vgprLocalReadAddrB] offset:20480 // L -> Reg lro=2048 swapByteOffset=16384 ti=128 vIdx=0 rIdx=0 oIdx=0 buffer=1 iui=0
_ds_load_u16_d16_hi v81, v[vgprLocalReadAddrB] offset:20992 // L -> Reg lro=2048 swapByteOffset=16384 ti=128 vIdx=0 rIdx=1 oIdx=0 buffer=1 iui=0
_buffer_load_b128 v[vgprG2LA+4:vgprG2LA+4+3], v[vgprGlobalReadOffsetA+1], s[sgprSrdA:sgprSrdA+3], 0, offen offset:0 // G -> Reg 0_0_1_0
/* pack scheduling: packAIdx:4, packBIdx:2 */
v_or_b32 v[vgprValuA_X0_I0+4], v[vgprValuA_X0_I0+4], v61 // pack two half Vgpr to one Vgpr
v_or_b32 v[vgprValuA_X0_I0+5], v[vgprValuA_X0_I0+5], v62 // pack two half Vgpr to one Vgpr
	;; [unrolled: 1-line block ×4, first 2 shown]
v_mfma_f32_32x32x8f16 a[16+0:31+0], v[vgprValuB_X0_I0+0+0+0:vgprValuB_X0_I0+0+0+0+1], v[vgprValuA_X0_I0+2+0+0:vgprValuA_X0_I0+2+0+0+1], a[16:31]
/*  mfmaIndex:2  */
_ds_load_u16 v[vgprValuB_X1_I0+1], v[vgprLocalReadAddrB] offset:21504 // L -> Reg lro=2048 swapByteOffset=16384 ti=128 vIdx=0 rIdx=2 oIdx=0 buffer=1 iui=0
_ds_load_u16_d16_hi v82, v[vgprLocalReadAddrB] offset:22016 // L -> Reg lro=2048 swapByteOffset=16384 ti=128 vIdx=0 rIdx=3 oIdx=0 buffer=1 iui=0
_ds_load_u16 v[vgprValuA_X1_I0+2], v[vgprLocalReadAddrA] offset:20482 // L -> Reg lro=2048 swapByteOffset=16384 ti=256 vIdx=0 rIdx=0 oIdx=0 buffer=1 iui=0
_ds_load_u16_d16_hi v75, v[vgprLocalReadAddrA] offset:20994 // L -> Reg lro=2048 swapByteOffset=16384 ti=256 vIdx=0 rIdx=1 oIdx=0 buffer=1 iui=0
_ds_load_u16 v[vgprValuA_X1_I0+3], v[vgprLocalReadAddrA] offset:21506 // L -> Reg lro=2048 swapByteOffset=16384 ti=256 vIdx=0 rIdx=2 oIdx=0 buffer=1 iui=0
_ds_load_u16_d16_hi v76, v[vgprLocalReadAddrA] offset:22018 // L -> Reg lro=2048 swapByteOffset=16384 ti=256 vIdx=0 rIdx=3 oIdx=0 buffer=1 iui=0
_buffer_load_b128 v[vgprG2LB+0:vgprG2LB+0+3], v[vgprGlobalReadOffsetB+0], s[sgprSrdB:sgprSrdB+3], 0, offen offset:0 // G -> Reg 0_0_0_0
/* pack scheduling: packAIdx:6, packBIdx:2 */
v_or_b32 v[vgprValuB_X0_I0+2], v[vgprValuB_X0_I0+2], v67 // pack two half Vgpr to one Vgpr
v_or_b32 v[vgprValuB_X0_I0+3], v[vgprValuB_X0_I0+3], v68 // pack two half Vgpr to one Vgpr
	;; [unrolled: 1-line block ×4, first 2 shown]
v_mfma_f32_32x32x8f16 a[32+0:47+0], v[vgprValuB_X0_I0+0+0+0:vgprValuB_X0_I0+0+0+0+1], v[vgprValuA_X0_I0+4+0+0:vgprValuA_X0_I0+4+0+0+1], a[32:47]
/*  mfmaIndex:3  */
_ds_load_u16 v[vgprValuA_X1_I0+4], v[vgprLocalReadAddrA] offset:20484 // L -> Reg lro=2048 swapByteOffset=16384 ti=256 vIdx=0 rIdx=0 oIdx=0 buffer=1 iui=0
_ds_load_u16_d16_hi v77, v[vgprLocalReadAddrA] offset:20996 // L -> Reg lro=2048 swapByteOffset=16384 ti=256 vIdx=0 rIdx=1 oIdx=0 buffer=1 iui=0
_ds_load_u16 v[vgprValuA_X1_I0+5], v[vgprLocalReadAddrA] offset:21508 // L -> Reg lro=2048 swapByteOffset=16384 ti=256 vIdx=0 rIdx=2 oIdx=0 buffer=1 iui=0
_ds_load_u16_d16_hi v78, v[vgprLocalReadAddrA] offset:22020 // L -> Reg lro=2048 swapByteOffset=16384 ti=256 vIdx=0 rIdx=3 oIdx=0 buffer=1 iui=0
	;; [unrolled: 2-line block ×3, first 2 shown]
_buffer_load_b128 v[vgprG2LB+4:vgprG2LB+4+3], v[vgprGlobalReadOffsetB+1], s[sgprSrdB:sgprSrdB+3], 0, offen offset:0 // G -> Reg 0_0_1_0
/* pack scheduling: packAIdx:8, packBIdx:2 */
v_or_b32 v[vgprValuB_X0_I0+6], v[vgprValuB_X0_I0+6], v71 // pack two half Vgpr to one Vgpr
v_or_b32 v[vgprValuB_X0_I0+7], v[vgprValuB_X0_I0+7], v72 // pack two half Vgpr to one Vgpr
v_mfma_f32_32x32x8f16 a[48+0:63+0], v[vgprValuB_X0_I0+0+0+0:vgprValuB_X0_I0+0+0+0+1], v[vgprValuA_X0_I0+6+0+0:vgprValuA_X0_I0+6+0+0+1], a[48:63]
/*  mfmaIndex:4  */
_ds_load_u16 v[vgprValuA_X1_I0+7], v[vgprLocalReadAddrA] offset:21510 // L -> Reg lro=2048 swapByteOffset=16384 ti=256 vIdx=0 rIdx=2 oIdx=0 buffer=1 iui=0
_ds_load_u16_d16_hi v80, v[vgprLocalReadAddrA] offset:22022 // L -> Reg lro=2048 swapByteOffset=16384 ti=256 vIdx=0 rIdx=3 oIdx=0 buffer=1 iui=0
_ds_load_u16 v[vgprValuB_X1_I0+2], v[vgprLocalReadAddrB] offset:20482 // L -> Reg lro=2048 swapByteOffset=16384 ti=128 vIdx=0 rIdx=0 oIdx=0 buffer=1 iui=0
_ds_load_u16_d16_hi v83, v[vgprLocalReadAddrB] offset:20994 // L -> Reg lro=2048 swapByteOffset=16384 ti=128 vIdx=0 rIdx=1 oIdx=0 buffer=1 iui=0
_ds_load_u16 v[vgprValuB_X1_I0+3], v[vgprLocalReadAddrB] offset:21506 // L -> Reg lro=2048 swapByteOffset=16384 ti=128 vIdx=0 rIdx=2 oIdx=0 buffer=1 iui=0
_ds_load_u16_d16_hi v84, v[vgprLocalReadAddrB] offset:22018 // L -> Reg lro=2048 swapByteOffset=16384 ti=128 vIdx=0 rIdx=3 oIdx=0 buffer=1 iui=0

/* global read inc A loopL */
s_cmp_eq_u32 s[sgprLoopCounterL], s[sgprStaggerUIter] // Is this the wrapIter?
s_cselect_b32 s56, s[sgprWrapUA+0], s[sgprGlobalReadIncsA+0] // incLower <- ?
s_cselect_b32 s57, s[sgprWrapUA+1], 0              // incUpper <- ?
s_add_u32 s[sgprSrdA+0], s[sgprSrdA+0], s56        // gra SRD += inc(lower)
s_addc_u32  s[sgprSrdA+1], s[sgprSrdA+1], s57      // gra SRD += inc(upper)
s_sub_u32 s[sgprShadowLimitA+0], s[sgprShadowLimitA+0], s56 // limit -= inc)
s_subb_u32 s[sgprShadowLimitA+1], s[sgprShadowLimitA+1], s57 // limit -= inc)
v_mfma_f32_32x32x8f16 a[112+0:127+0], v[vgprValuB_X0_I0+2+0+0:vgprValuB_X0_I0+2+0+0+1], v[vgprValuA_X0_I0+6+0+0:vgprValuA_X0_I0+6+0+0+1], a[112:127]
/*  mfmaIndex:5  */
_ds_load_u16 v[vgprValuB_X1_I0+4], v[vgprLocalReadAddrB] offset:20736 // L -> Reg lro=2048 swapByteOffset=16384 ti=128 vIdx=1 rIdx=0 oIdx=0 buffer=1 iui=0
_ds_load_u16_d16_hi v85, v[vgprLocalReadAddrB] offset:21248 // L -> Reg lro=2048 swapByteOffset=16384 ti=128 vIdx=1 rIdx=1 oIdx=0 buffer=1 iui=0
_ds_load_u16 v[vgprValuB_X1_I0+5], v[vgprLocalReadAddrB] offset:21760 // L -> Reg lro=2048 swapByteOffset=16384 ti=128 vIdx=1 rIdx=2 oIdx=0 buffer=1 iui=0
_ds_load_u16_d16_hi v86, v[vgprLocalReadAddrB] offset:22272 // L -> Reg lro=2048 swapByteOffset=16384 ti=128 vIdx=1 rIdx=3 oIdx=0 buffer=1 iui=0
	;; [unrolled: 2-line block ×3, first 2 shown]
s_cmp_eq_u32 s[sgprShadowLimitA+1], 0              // are we within 2^32?
s_cselect_b32 s[sgprSrdA+2], s[sgprShadowLimitA+0], BufferLimitA // Move shadow to real if we are within 2^32

/* global read inc B loopL */
s_cmp_eq_u32 s[sgprLoopCounterL], s[sgprStaggerUIter] // Is this the wrapIter?
s_cselect_b32 s56, s[sgprWrapUB+0], s[sgprGlobalReadIncsB+0] // incLower <- ?
s_cselect_b32 s57, s[sgprWrapUB+1], 0              // incUpper <- ?
s_add_u32 s[sgprSrdB+0], s[sgprSrdB+0], s56        // gra SRD += inc(lower)
s_addc_u32  s[sgprSrdB+1], s[sgprSrdB+1], s57      // gra SRD += inc(upper)
v_mfma_f32_32x32x8f16 a[96+0:111+0], v[vgprValuB_X0_I0+2+0+0:vgprValuB_X0_I0+2+0+0+1], v[vgprValuA_X0_I0+4+0+0:vgprValuA_X0_I0+4+0+0+1], a[96:111]
/*  mfmaIndex:6  */
_ds_load_u16 v[vgprValuB_X1_I0+7], v[vgprLocalReadAddrB] offset:21762 // L -> Reg lro=2048 swapByteOffset=16384 ti=128 vIdx=1 rIdx=2 oIdx=0 buffer=1 iui=0
_ds_load_u16_d16_hi v88, v[vgprLocalReadAddrB] offset:22274 // L -> Reg lro=2048 swapByteOffset=16384 ti=128 vIdx=1 rIdx=3 oIdx=0 buffer=1 iui=0
/* localReadsVacancy: latencyLeft 9 */
s_sub_u32 s[sgprShadowLimitB+0], s[sgprShadowLimitB+0], s56 // limit -= inc)
s_subb_u32 s[sgprShadowLimitB+1], s[sgprShadowLimitB+1], s57 // limit -= inc)
s_cmp_eq_u32 s[sgprShadowLimitB+1], 0              // are we within 2^32?
s_cselect_b32 s[sgprSrdB+2], s[sgprShadowLimitB+0], BufferLimitB // Move shadow to real if we are within 2^32
v_mfma_f32_32x32x8f16 a[80+0:95+0], v[vgprValuB_X0_I0+2+0+0:vgprValuB_X0_I0+2+0+0+1], v[vgprValuA_X0_I0+2+0+0:vgprValuA_X0_I0+2+0+0+1], a[80:95]
/*  mfmaIndex:7  */
/* localReadsVacancy: latencyLeft 13 */
v_mfma_f32_32x32x8f16 a[64+0:79+0], v[vgprValuB_X0_I0+2+0+0:vgprValuB_X0_I0+2+0+0+1], v[vgprValuA_X0_I0+0+0+0:vgprValuA_X0_I0+0+0+0+1], a[64:79]
/*  mfmaIndex:8  */
/* localReadsVacancy: latencyLeft 13 */
	;; [unrolled: 3-line block ×9, first 2 shown]

/* local read swap offsets a */

/* local read swap internal offset -> 0 */

/* local read swap offsets b */

/* local read swap internal offset -> 0 */

/* local read init pointers a */

/* localReadInitPointers */

/* local read init pointers b */

/* localReadInitPointers */
v_mfma_f32_32x32x8f16 a[192+0:207+0], v[vgprValuB_X0_I0+6+0+0:vgprValuB_X0_I0+6+0+0+1], v[vgprValuA_X0_I0+0+0+0:vgprValuA_X0_I0+0+0+0+1], a[192:207]
/* numPrefetchIter=0 */
/* dataAtIterA=-1 numReadsIterA=1 skipReadsIterA=1 readsPerIterA=16 */
/* dataAtIterB=-1 numReadsIterB=1 skipReadsIterB=1 readsPerIterB=16 */


/* iter 1 (swap and reset local write pointers iteration)  */

/*  grEndMfmaIndex:3, lwStartMfmaIndex:20, lwEndMfmaIndex:23  */
/*  numMfmaForLR:6, barrierMfmaIndex:25 */
/*  mfmaIndex:16  */
s_waitcnt lgkmcnt(0)                               // lgkmcnt=0 vmcnt=-1wait for prior local read local write old=0, new=0 newLW=0 newLR=0
/* pack scheduling: packAIdx:2, packBIdx:2 */
v_or_b32 v[vgprValuA_X1_I0+0], v[vgprValuA_X1_I0+0], v73 // pack two half Vgpr to one Vgpr
v_or_b32 v[vgprValuA_X1_I0+1], v[vgprValuA_X1_I0+1], v74 // pack two half Vgpr to one Vgpr
v_or_b32 v[vgprValuB_X1_I0+0], v[vgprValuB_X1_I0+0], v81 // pack two half Vgpr to one Vgpr
v_or_b32 v[vgprValuB_X1_I0+1], v[vgprValuB_X1_I0+1], v82 // pack two half Vgpr to one Vgpr
v_or_b32 v[vgprValuA_X1_I0+2], v[vgprValuA_X1_I0+2], v75 // pack two half Vgpr to one Vgpr
v_or_b32 v[vgprValuA_X1_I0+3], v[vgprValuA_X1_I0+3], v76 // pack two half Vgpr to one Vgpr
v_mfma_f32_32x32x8f16 a[0+0:15+0], v[vgprValuB_X1_I0+0+0+0:vgprValuB_X1_I0+0+0+0+1], v[vgprValuA_X1_I0+0+0+0:vgprValuA_X1_I0+0+0+0+1], a[0:15]
/*  mfmaIndex:17  */
/* pack scheduling: packAIdx:4, packBIdx:2 */
v_or_b32 v[vgprValuA_X1_I0+4], v[vgprValuA_X1_I0+4], v77 // pack two half Vgpr to one Vgpr
v_or_b32 v[vgprValuA_X1_I0+5], v[vgprValuA_X1_I0+5], v78 // pack two half Vgpr to one Vgpr
	;; [unrolled: 1-line block ×4, first 2 shown]
v_mfma_f32_32x32x8f16 a[16+0:31+0], v[vgprValuB_X1_I0+0+0+0:vgprValuB_X1_I0+0+0+0+1], v[vgprValuA_X1_I0+2+0+0:vgprValuA_X1_I0+2+0+0+1], a[16:31]
/*  mfmaIndex:18  */
/* pack scheduling: packAIdx:6, packBIdx:2 */
v_or_b32 v[vgprValuB_X1_I0+2], v[vgprValuB_X1_I0+2], v83 // pack two half Vgpr to one Vgpr
v_or_b32 v[vgprValuB_X1_I0+3], v[vgprValuB_X1_I0+3], v84 // pack two half Vgpr to one Vgpr
	;; [unrolled: 1-line block ×4, first 2 shown]
v_mfma_f32_32x32x8f16 a[32+0:47+0], v[vgprValuB_X1_I0+0+0+0:vgprValuB_X1_I0+0+0+0+1], v[vgprValuA_X1_I0+4+0+0:vgprValuA_X1_I0+4+0+0+1], a[32:47]
/*  mfmaIndex:19  */
/* pack scheduling: packAIdx:8, packBIdx:2 */
v_or_b32 v[vgprValuB_X1_I0+6], v[vgprValuB_X1_I0+6], v87 // pack two half Vgpr to one Vgpr
v_or_b32 v[vgprValuB_X1_I0+7], v[vgprValuB_X1_I0+7], v88 // pack two half Vgpr to one Vgpr
v_mfma_f32_32x32x8f16 a[48+0:63+0], v[vgprValuB_X1_I0+0+0+0:vgprValuB_X1_I0+0+0+0+1], v[vgprValuA_X1_I0+6+0+0:vgprValuA_X1_I0+6+0+0+1], a[48:63]
/*  mfmaIndex:20  */
/* sched write - iter 1 writesPerItem=1 */
s_waitcnt vmcnt(0)                                 // lgkmcnt=-1 vmcnt=0wait for global read before writing to local
_ds_store_b128 v[vgprLocalWriteAddrA], v[vgprG2LA+0:vgprG2LA+0+3] offset:0 // lwoA_0_0_0_0 = (0*LSCA) + (0*LSPA)(*MT0I+PAD) = 0
v_mfma_f32_32x32x8f16 a[112+0:127+0], v[vgprValuB_X1_I0+2+0+0:vgprValuB_X1_I0+2+0+0+1], v[vgprValuA_X1_I0+6+0+0:vgprValuA_X1_I0+6+0+0+1], a[112:127]
/*  mfmaIndex:21  */
/* sched write - iter 1 writesPerItem=1 */
s_waitcnt vmcnt(0)                                 // lgkmcnt=-1 vmcnt=0wait for global read before writing to local
_ds_store_b128 v[vgprLocalWriteAddrA], v[vgprG2LA+4:vgprG2LA+4+3] offset:1024 // lwoA_0_0_1_0 = (0*LSCA) + (1*LSPA)(*MT0I+PAD) = 1024
v_mfma_f32_32x32x8f16 a[96+0:111+0], v[vgprValuB_X1_I0+2+0+0:vgprValuB_X1_I0+2+0+0+1], v[vgprValuA_X1_I0+4+0+0:vgprValuA_X1_I0+4+0+0+1], a[96:111]
/*  mfmaIndex:22  */
/* sched write - iter 1 writesPerItem=1 */
s_waitcnt vmcnt(0)                                 // lgkmcnt=-1 vmcnt=0wait for global read before writing to local
_ds_store_b128 v[vgprLocalWriteAddrB], v[vgprG2LB+0:vgprG2LB+0+3] offset:0 // lwoB_0_0_0_0 = (0*LSCB) + (0*LSPB)(*MT1J+PAD) = 0
v_mfma_f32_32x32x8f16 a[80+0:95+0], v[vgprValuB_X1_I0+2+0+0:vgprValuB_X1_I0+2+0+0+1], v[vgprValuA_X1_I0+2+0+0:vgprValuA_X1_I0+2+0+0+1], a[80:95]
/*  mfmaIndex:23  */
/* sched write - iter 1 writesPerItem=1 */
s_waitcnt vmcnt(0)                                 // lgkmcnt=-1 vmcnt=0wait for global read before writing to local
_ds_store_b128 v[vgprLocalWriteAddrB], v[vgprG2LB+4:vgprG2LB+4+3] offset:1024 // lwoB_0_0_1_0 = (0*LSCB) + (1*LSPB)(*MT1J+PAD) = 1024

/* local write swap offsets a */

/* (EPS=1) local write swap internal offset -> 16384 */

/* local write swap offsets b */

/* (EPS=1) local write swap internal offset -> 16384 */
v_mfma_f32_32x32x8f16 a[64+0:79+0], v[vgprValuB_X1_I0+2+0+0:vgprValuB_X1_I0+2+0+0+1], v[vgprValuA_X1_I0+0+0+0:vgprValuA_X1_I0+0+0+0+1], a[64:79]
/*  mfmaIndex:24  */
v_mfma_f32_32x32x8f16 a[128+0:143+0], v[vgprValuB_X1_I0+4+0+0:vgprValuB_X1_I0+4+0+0+1], v[vgprValuA_X1_I0+0+0+0:vgprValuA_X1_I0+0+0+0+1], a[128:143]
/*  mfmaIndex:25  */
s_waitcnt lgkmcnt(0)                               // lgkmcnt=0 vmcnt=-13wait for local write
s_waitcnt lgkmcnt(0) & vmcnt(0)                    // force waitcnt0
s_barrier //
v_mfma_f32_32x32x8f16 a[144+0:159+0], v[vgprValuB_X1_I0+4+0+0:vgprValuB_X1_I0+4+0+0+1], v[vgprValuA_X1_I0+2+0+0:vgprValuA_X1_I0+2+0+0+1], a[144:159]
/*  mfmaIndex:26  */
_ds_load_u16 v[vgprValuA_X0_I0+0], v[vgprLocalReadAddrA] offset:0 // L -> Reg lro=0 swapByteOffset=0 ti=256 vIdx=0 rIdx=0 oIdx=0 buffer=0 iui=0
_ds_load_u16_d16_hi v57, v[vgprLocalReadAddrA] offset:512 // L -> Reg lro=0 swapByteOffset=0 ti=256 vIdx=0 rIdx=1 oIdx=0 buffer=0 iui=0
_ds_load_u16 v[vgprValuA_X0_I0+1], v[vgprLocalReadAddrA] offset:1024 // L -> Reg lro=0 swapByteOffset=0 ti=256 vIdx=0 rIdx=2 oIdx=0 buffer=0 iui=0
_ds_load_u16_d16_hi v58, v[vgprLocalReadAddrA] offset:1536 // L -> Reg lro=0 swapByteOffset=0 ti=256 vIdx=0 rIdx=3 oIdx=0 buffer=0 iui=0
_ds_load_u16 v[vgprValuB_X0_I0+0], v[vgprLocalReadAddrB] offset:0 // L -> Reg lro=0 swapByteOffset=0 ti=128 vIdx=0 rIdx=0 oIdx=0 buffer=0 iui=0
_ds_load_u16_d16_hi v65, v[vgprLocalReadAddrB] offset:512 // L -> Reg lro=0 swapByteOffset=0 ti=128 vIdx=0 rIdx=1 oIdx=0 buffer=0 iui=0
v_mfma_f32_32x32x8f16 a[160+0:175+0], v[vgprValuB_X1_I0+4+0+0:vgprValuB_X1_I0+4+0+0+1], v[vgprValuA_X1_I0+4+0+0:vgprValuA_X1_I0+4+0+0+1], a[160:175]
/*  mfmaIndex:27  */
_ds_load_u16 v[vgprValuB_X0_I0+1], v[vgprLocalReadAddrB] offset:1024 // L -> Reg lro=0 swapByteOffset=0 ti=128 vIdx=0 rIdx=2 oIdx=0 buffer=0 iui=0
_ds_load_u16_d16_hi v66, v[vgprLocalReadAddrB] offset:1536 // L -> Reg lro=0 swapByteOffset=0 ti=128 vIdx=0 rIdx=3 oIdx=0 buffer=0 iui=0
_ds_load_u16 v[vgprValuA_X0_I0+2], v[vgprLocalReadAddrA] offset:2 // L -> Reg lro=0 swapByteOffset=0 ti=256 vIdx=0 rIdx=0 oIdx=0 buffer=0 iui=0
_ds_load_u16_d16_hi v59, v[vgprLocalReadAddrA] offset:514 // L -> Reg lro=0 swapByteOffset=0 ti=256 vIdx=0 rIdx=1 oIdx=0 buffer=0 iui=0
_ds_load_u16 v[vgprValuA_X0_I0+3], v[vgprLocalReadAddrA] offset:1026 // L -> Reg lro=0 swapByteOffset=0 ti=256 vIdx=0 rIdx=2 oIdx=0 buffer=0 iui=0
_ds_load_u16_d16_hi v60, v[vgprLocalReadAddrA] offset:1538 // L -> Reg lro=0 swapByteOffset=0 ti=256 vIdx=0 rIdx=3 oIdx=0 buffer=0 iui=0
v_mfma_f32_32x32x8f16 a[176+0:191+0], v[vgprValuB_X1_I0+4+0+0:vgprValuB_X1_I0+4+0+0+1], v[vgprValuA_X1_I0+6+0+0:vgprValuA_X1_I0+6+0+0+1], a[176:191]
/*  mfmaIndex:28  */
_ds_load_u16 v[vgprValuA_X0_I0+4], v[vgprLocalReadAddrA] offset:4 // L -> Reg lro=0 swapByteOffset=0 ti=256 vIdx=0 rIdx=0 oIdx=0 buffer=0 iui=0
_ds_load_u16_d16_hi v61, v[vgprLocalReadAddrA] offset:516 // L -> Reg lro=0 swapByteOffset=0 ti=256 vIdx=0 rIdx=1 oIdx=0 buffer=0 iui=0
_ds_load_u16 v[vgprValuA_X0_I0+5], v[vgprLocalReadAddrA] offset:1028 // L -> Reg lro=0 swapByteOffset=0 ti=256 vIdx=0 rIdx=2 oIdx=0 buffer=0 iui=0
_ds_load_u16_d16_hi v62, v[vgprLocalReadAddrA] offset:1540 // L -> Reg lro=0 swapByteOffset=0 ti=256 vIdx=0 rIdx=3 oIdx=0 buffer=0 iui=0
	;; [unrolled: 2-line block ×3, first 2 shown]
v_mfma_f32_32x32x8f16 a[240+0:255+0], v[vgprValuB_X1_I0+6+0+0:vgprValuB_X1_I0+6+0+0+1], v[vgprValuA_X1_I0+6+0+0:vgprValuA_X1_I0+6+0+0+1], a[240:255]
/*  mfmaIndex:29  */
_ds_load_u16 v[vgprValuA_X0_I0+7], v[vgprLocalReadAddrA] offset:1030 // L -> Reg lro=0 swapByteOffset=0 ti=256 vIdx=0 rIdx=2 oIdx=0 buffer=0 iui=0
_ds_load_u16_d16_hi v64, v[vgprLocalReadAddrA] offset:1542 // L -> Reg lro=0 swapByteOffset=0 ti=256 vIdx=0 rIdx=3 oIdx=0 buffer=0 iui=0
_ds_load_u16 v[vgprValuB_X0_I0+2], v[vgprLocalReadAddrB] offset:2 // L -> Reg lro=0 swapByteOffset=0 ti=128 vIdx=0 rIdx=0 oIdx=0 buffer=0 iui=0
_ds_load_u16_d16_hi v67, v[vgprLocalReadAddrB] offset:514 // L -> Reg lro=0 swapByteOffset=0 ti=128 vIdx=0 rIdx=1 oIdx=0 buffer=0 iui=0
_ds_load_u16 v[vgprValuB_X0_I0+3], v[vgprLocalReadAddrB] offset:1026 // L -> Reg lro=0 swapByteOffset=0 ti=128 vIdx=0 rIdx=2 oIdx=0 buffer=0 iui=0
_ds_load_u16_d16_hi v68, v[vgprLocalReadAddrB] offset:1538 // L -> Reg lro=0 swapByteOffset=0 ti=128 vIdx=0 rIdx=3 oIdx=0 buffer=0 iui=0
v_mfma_f32_32x32x8f16 a[224+0:239+0], v[vgprValuB_X1_I0+6+0+0:vgprValuB_X1_I0+6+0+0+1], v[vgprValuA_X1_I0+4+0+0:vgprValuA_X1_I0+4+0+0+1], a[224:239]
/*  mfmaIndex:30  */
_ds_load_u16 v[vgprValuB_X0_I0+4], v[vgprLocalReadAddrB] offset:256 // L -> Reg lro=0 swapByteOffset=0 ti=128 vIdx=1 rIdx=0 oIdx=0 buffer=0 iui=0
_ds_load_u16_d16_hi v69, v[vgprLocalReadAddrB] offset:768 // L -> Reg lro=0 swapByteOffset=0 ti=128 vIdx=1 rIdx=1 oIdx=0 buffer=0 iui=0
_ds_load_u16 v[vgprValuB_X0_I0+5], v[vgprLocalReadAddrB] offset:1280 // L -> Reg lro=0 swapByteOffset=0 ti=128 vIdx=1 rIdx=2 oIdx=0 buffer=0 iui=0
_ds_load_u16_d16_hi v70, v[vgprLocalReadAddrB] offset:1792 // L -> Reg lro=0 swapByteOffset=0 ti=128 vIdx=1 rIdx=3 oIdx=0 buffer=0 iui=0
	;; [unrolled: 2-line block ×3, first 2 shown]
v_mfma_f32_32x32x8f16 a[208+0:223+0], v[vgprValuB_X1_I0+6+0+0:vgprValuB_X1_I0+6+0+0+1], v[vgprValuA_X1_I0+2+0+0:vgprValuA_X1_I0+2+0+0+1], a[208:223]
/*  mfmaIndex:31  */
_ds_load_u16 v[vgprValuB_X0_I0+7], v[vgprLocalReadAddrB] offset:1282 // L -> Reg lro=0 swapByteOffset=0 ti=128 vIdx=1 rIdx=2 oIdx=0 buffer=0 iui=0
_ds_load_u16_d16_hi v72, v[vgprLocalReadAddrB] offset:1794 // L -> Reg lro=0 swapByteOffset=0 ti=128 vIdx=1 rIdx=3 oIdx=0 buffer=0 iui=0
v_mfma_f32_32x32x8f16 a[192+0:207+0], v[vgprValuB_X1_I0+6+0+0:vgprValuB_X1_I0+6+0+0+1], v[vgprValuA_X1_I0+0+0+0:vgprValuA_X1_I0+0+0+0+1], a[192:207]
/* numPrefetchIter=1 */
/* dataAtIterA=0 numReadsIterA=1 skipReadsIterA=1 readsPerIterA=16 */
/* dataAtIterB=0 numReadsIterB=1 skipReadsIterB=1 readsPerIterB=16 */


/******************************************/
/* Unrolled Loop - End 2/2 (final)        */
/******************************************/


/* closeLoop loopL finalLoop=1 tailLoop=0 */
s_sub_u32 s[sgprLoopCounterL], s[sgprLoopCounterL], 1 // dec counterL
s_cmp_eq_i32 s[sgprLoopCounterL], 0x1              // counterL==1
s_cbranch_scc0 LoopBeginL_1                        // restart LoopL
LoopEndL_evenexit_4: // unroll loop eveniter exit
s_branch LoopEndL_2                                // exit unroll loopL (and skip second exit code)
LoopEndL_oddexit_3: // unroll loop odditer exit

/* Select high bank of LDS */
v_xor_b32 v[vgprLocalReadAddrA], 0x4000, v[vgprLocalReadAddrA] // swap Red Blk
v_xor_b32 v[vgprLocalReadAddrB], 0x4000, v[vgprLocalReadAddrB] // swap Red Blk
LoopEndL_2:


/* Before NLL: Check VGPR.checkin for INT8 LW */


/******************************************/
/* Opt. NoLoadLoop Without PAP - Begin                                      */
/******************************************/

s_cmpk_eq_u32 s[sgprBeta], 0x0                     // Beta == 0
s_cbranch_scc0 OptNLL_End_15                       // Branch if Beta is not zero

s_cmp_eq_u32 s[sgprAlpha], 1.0                     // Alpha == 1.0 ?
s_cbranch_scc0 OptNLL_End_15                       // branch if alpha != 1

s_and_b32 s56, 255, s[sgprSizeI]                   // s56 = s[sgprSizeI] % 256
s_add_u32 s57, -0x1, s[sgprNumWorkGroups0]         // 
s_cmp_ge_u32 s[sgprWorkGroup0], s57                // wg0 >= nwg0-1 ?
s_cselect_b32 s56, s56, 0                          // set rMT0
s_cmpk_gt_u32 s56, 0x0                             // rMT0 > 0
s_cbranch_scc1 OptNLL_End_15                       // jump if edges required
s_and_b32 s56, 255, s[sgprSizeJ]                   // s56 = s[sgprSizeJ] % 256
s_add_u32 s57, -0x1, s[sgprNumWorkGroups1]         // 
s_cmp_ge_u32 s[sgprWorkGroup1], s57                // wg1 >= nwg1-1
s_cselect_b32 s56, s56, 0                          // set rMT1
s_cmpk_gt_u32 s56, 0x0                             // rMT1 > 0
s_cbranch_scc1 OptNLL_End_15                       // jump if edges required

s_and_b32 s57, 15, s[sgprSizesSum+0]               // s57 = s[sgprSizesSum+0] % 16
s_cmp_eq_u32 s57, 0x0                              // numIterL == 0
s_cbranch_scc0 OptNLL_End_15                       // skip if tail loop required


	;; [unrolled: 1-line block ×3, first 2 shown]
/* iter 0 (last unrolled loop) */

/*  grEndMfmaIndex:0, lwStartMfmaIndex:23, lwEndMfmaIndex:23  */
/*  numMfmaForLR:6, barrierMfmaIndex:25 */
/*  mfmaIndex:0  */
s_waitcnt lgkmcnt(0)                               // lgkmcnt=0 vmcnt=-1wait for prior local read local write old=0, new=0 newLW=0 newLR=0
/* pack scheduling: packAIdx:2, packBIdx:2 */
v_or_b32 v[vgprValuA_X0_I0+0], v[vgprValuA_X0_I0+0], v57 // pack two half Vgpr to one Vgpr
v_or_b32 v[vgprValuA_X0_I0+1], v[vgprValuA_X0_I0+1], v58 // pack two half Vgpr to one Vgpr
v_or_b32 v[vgprValuB_X0_I0+0], v[vgprValuB_X0_I0+0], v65 // pack two half Vgpr to one Vgpr
v_or_b32 v[vgprValuB_X0_I0+1], v[vgprValuB_X0_I0+1], v66 // pack two half Vgpr to one Vgpr
v_or_b32 v[vgprValuA_X0_I0+2], v[vgprValuA_X0_I0+2], v59 // pack two half Vgpr to one Vgpr
v_or_b32 v[vgprValuA_X0_I0+3], v[vgprValuA_X0_I0+3], v60 // pack two half Vgpr to one Vgpr
v_mfma_f32_32x32x8f16 a[0+0:15+0], v[vgprValuB_X0_I0+0+0+0:vgprValuB_X0_I0+0+0+0+1], v[vgprValuA_X0_I0+0+0+0:vgprValuA_X0_I0+0+0+0+1], a[0:15]
/*  mfmaIndex:1  */
_ds_load_u16 v[vgprValuA_X1_I0+0], v[vgprLocalReadAddrA] offset:4096 // L -> Reg lro=2048 swapByteOffset=0 ti=256 vIdx=0 rIdx=0 oIdx=0 buffer=1 iui=0
_ds_load_u16_d16_hi v73, v[vgprLocalReadAddrA] offset:4608 // L -> Reg lro=2048 swapByteOffset=0 ti=256 vIdx=0 rIdx=1 oIdx=0 buffer=1 iui=0
_ds_load_u16 v[vgprValuA_X1_I0+1], v[vgprLocalReadAddrA] offset:5120 // L -> Reg lro=2048 swapByteOffset=0 ti=256 vIdx=0 rIdx=2 oIdx=0 buffer=1 iui=0
_ds_load_u16_d16_hi v74, v[vgprLocalReadAddrA] offset:5632 // L -> Reg lro=2048 swapByteOffset=0 ti=256 vIdx=0 rIdx=3 oIdx=0 buffer=1 iui=0
_ds_load_u16 v[vgprValuB_X1_I0+0], v[vgprLocalReadAddrB] offset:4096 // L -> Reg lro=2048 swapByteOffset=0 ti=128 vIdx=0 rIdx=0 oIdx=0 buffer=1 iui=0
_ds_load_u16_d16_hi v81, v[vgprLocalReadAddrB] offset:4608 // L -> Reg lro=2048 swapByteOffset=0 ti=128 vIdx=0 rIdx=1 oIdx=0 buffer=1 iui=0
/* pack scheduling: packAIdx:4, packBIdx:2 */
v_or_b32 v[vgprValuA_X0_I0+4], v[vgprValuA_X0_I0+4], v61 // pack two half Vgpr to one Vgpr
v_or_b32 v[vgprValuA_X0_I0+5], v[vgprValuA_X0_I0+5], v62 // pack two half Vgpr to one Vgpr
	;; [unrolled: 1-line block ×4, first 2 shown]
v_mfma_f32_32x32x8f16 a[16+0:31+0], v[vgprValuB_X0_I0+0+0+0:vgprValuB_X0_I0+0+0+0+1], v[vgprValuA_X0_I0+2+0+0:vgprValuA_X0_I0+2+0+0+1], a[16:31]
/*  mfmaIndex:2  */
_ds_load_u16 v[vgprValuB_X1_I0+1], v[vgprLocalReadAddrB] offset:5120 // L -> Reg lro=2048 swapByteOffset=0 ti=128 vIdx=0 rIdx=2 oIdx=0 buffer=1 iui=0
_ds_load_u16_d16_hi v82, v[vgprLocalReadAddrB] offset:5632 // L -> Reg lro=2048 swapByteOffset=0 ti=128 vIdx=0 rIdx=3 oIdx=0 buffer=1 iui=0
_ds_load_u16 v[vgprValuA_X1_I0+2], v[vgprLocalReadAddrA] offset:4098 // L -> Reg lro=2048 swapByteOffset=0 ti=256 vIdx=0 rIdx=0 oIdx=0 buffer=1 iui=0
_ds_load_u16_d16_hi v75, v[vgprLocalReadAddrA] offset:4610 // L -> Reg lro=2048 swapByteOffset=0 ti=256 vIdx=0 rIdx=1 oIdx=0 buffer=1 iui=0
_ds_load_u16 v[vgprValuA_X1_I0+3], v[vgprLocalReadAddrA] offset:5122 // L -> Reg lro=2048 swapByteOffset=0 ti=256 vIdx=0 rIdx=2 oIdx=0 buffer=1 iui=0
_ds_load_u16_d16_hi v76, v[vgprLocalReadAddrA] offset:5634 // L -> Reg lro=2048 swapByteOffset=0 ti=256 vIdx=0 rIdx=3 oIdx=0 buffer=1 iui=0
/* pack scheduling: packAIdx:6, packBIdx:2 */
v_or_b32 v[vgprValuB_X0_I0+2], v[vgprValuB_X0_I0+2], v67 // pack two half Vgpr to one Vgpr
v_or_b32 v[vgprValuB_X0_I0+3], v[vgprValuB_X0_I0+3], v68 // pack two half Vgpr to one Vgpr
	;; [unrolled: 1-line block ×4, first 2 shown]
v_mfma_f32_32x32x8f16 a[32+0:47+0], v[vgprValuB_X0_I0+0+0+0:vgprValuB_X0_I0+0+0+0+1], v[vgprValuA_X0_I0+4+0+0:vgprValuA_X0_I0+4+0+0+1], a[32:47]
/*  mfmaIndex:3  */
_ds_load_u16 v[vgprValuA_X1_I0+4], v[vgprLocalReadAddrA] offset:4100 // L -> Reg lro=2048 swapByteOffset=0 ti=256 vIdx=0 rIdx=0 oIdx=0 buffer=1 iui=0
_ds_load_u16_d16_hi v77, v[vgprLocalReadAddrA] offset:4612 // L -> Reg lro=2048 swapByteOffset=0 ti=256 vIdx=0 rIdx=1 oIdx=0 buffer=1 iui=0
_ds_load_u16 v[vgprValuA_X1_I0+5], v[vgprLocalReadAddrA] offset:5124 // L -> Reg lro=2048 swapByteOffset=0 ti=256 vIdx=0 rIdx=2 oIdx=0 buffer=1 iui=0
_ds_load_u16_d16_hi v78, v[vgprLocalReadAddrA] offset:5636 // L -> Reg lro=2048 swapByteOffset=0 ti=256 vIdx=0 rIdx=3 oIdx=0 buffer=1 iui=0
	;; [unrolled: 2-line block ×3, first 2 shown]
/* pack scheduling: packAIdx:8, packBIdx:2 */
v_or_b32 v[vgprValuB_X0_I0+6], v[vgprValuB_X0_I0+6], v71 // pack two half Vgpr to one Vgpr
v_or_b32 v[vgprValuB_X0_I0+7], v[vgprValuB_X0_I0+7], v72 // pack two half Vgpr to one Vgpr
v_mfma_f32_32x32x8f16 a[48+0:63+0], v[vgprValuB_X0_I0+0+0+0:vgprValuB_X0_I0+0+0+0+1], v[vgprValuA_X0_I0+6+0+0:vgprValuA_X0_I0+6+0+0+1], a[48:63]
/*  mfmaIndex:4  */
_ds_load_u16 v[vgprValuA_X1_I0+7], v[vgprLocalReadAddrA] offset:5126 // L -> Reg lro=2048 swapByteOffset=0 ti=256 vIdx=0 rIdx=2 oIdx=0 buffer=1 iui=0
_ds_load_u16_d16_hi v80, v[vgprLocalReadAddrA] offset:5638 // L -> Reg lro=2048 swapByteOffset=0 ti=256 vIdx=0 rIdx=3 oIdx=0 buffer=1 iui=0
_ds_load_u16 v[vgprValuB_X1_I0+2], v[vgprLocalReadAddrB] offset:4098 // L -> Reg lro=2048 swapByteOffset=0 ti=128 vIdx=0 rIdx=0 oIdx=0 buffer=1 iui=0
_ds_load_u16_d16_hi v83, v[vgprLocalReadAddrB] offset:4610 // L -> Reg lro=2048 swapByteOffset=0 ti=128 vIdx=0 rIdx=1 oIdx=0 buffer=1 iui=0
_ds_load_u16 v[vgprValuB_X1_I0+3], v[vgprLocalReadAddrB] offset:5122 // L -> Reg lro=2048 swapByteOffset=0 ti=128 vIdx=0 rIdx=2 oIdx=0 buffer=1 iui=0
_ds_load_u16_d16_hi v84, v[vgprLocalReadAddrB] offset:5634 // L -> Reg lro=2048 swapByteOffset=0 ti=128 vIdx=0 rIdx=3 oIdx=0 buffer=1 iui=0
v_mfma_f32_32x32x8f16 a[112+0:127+0], v[vgprValuB_X0_I0+2+0+0:vgprValuB_X0_I0+2+0+0+1], v[vgprValuA_X0_I0+6+0+0:vgprValuA_X0_I0+6+0+0+1], a[112:127]
/*  mfmaIndex:5  */
_ds_load_u16 v[vgprValuB_X1_I0+4], v[vgprLocalReadAddrB] offset:4352 // L -> Reg lro=2048 swapByteOffset=0 ti=128 vIdx=1 rIdx=0 oIdx=0 buffer=1 iui=0
_ds_load_u16_d16_hi v85, v[vgprLocalReadAddrB] offset:4864 // L -> Reg lro=2048 swapByteOffset=0 ti=128 vIdx=1 rIdx=1 oIdx=0 buffer=1 iui=0
_ds_load_u16 v[vgprValuB_X1_I0+5], v[vgprLocalReadAddrB] offset:5376 // L -> Reg lro=2048 swapByteOffset=0 ti=128 vIdx=1 rIdx=2 oIdx=0 buffer=1 iui=0
_ds_load_u16_d16_hi v86, v[vgprLocalReadAddrB] offset:5888 // L -> Reg lro=2048 swapByteOffset=0 ti=128 vIdx=1 rIdx=3 oIdx=0 buffer=1 iui=0
	;; [unrolled: 2-line block ×3, first 2 shown]
v_mfma_f32_32x32x8f16 a[96+0:111+0], v[vgprValuB_X0_I0+2+0+0:vgprValuB_X0_I0+2+0+0+1], v[vgprValuA_X0_I0+4+0+0:vgprValuA_X0_I0+4+0+0+1], a[96:111]
/*  mfmaIndex:6  */
_ds_load_u16 v[vgprValuB_X1_I0+7], v[vgprLocalReadAddrB] offset:5378 // L -> Reg lro=2048 swapByteOffset=0 ti=128 vIdx=1 rIdx=2 oIdx=0 buffer=1 iui=0
_ds_load_u16_d16_hi v88, v[vgprLocalReadAddrB] offset:5890 // L -> Reg lro=2048 swapByteOffset=0 ti=128 vIdx=1 rIdx=3 oIdx=0 buffer=1 iui=0
/* localReadsVacancy: latencyLeft 9 */
v_mfma_f32_32x32x8f16 a[80+0:95+0], v[vgprValuB_X0_I0+2+0+0:vgprValuB_X0_I0+2+0+0+1], v[vgprValuA_X0_I0+2+0+0:vgprValuA_X0_I0+2+0+0+1], a[80:95]
/*  mfmaIndex:7  */
/* localReadsVacancy: latencyLeft 13 */
v_mfma_f32_32x32x8f16 a[64+0:79+0], v[vgprValuB_X0_I0+2+0+0:vgprValuB_X0_I0+2+0+0+1], v[vgprValuA_X0_I0+0+0+0:vgprValuA_X0_I0+0+0+0+1], a[64:79]
/*  mfmaIndex:8  */
	;; [unrolled: 3-line block ×9, first 2 shown]
/* localReadsVacancy: latencyLeft 13 */
v_mfma_f32_32x32x8f16 a[192+0:207+0], v[vgprValuB_X0_I0+6+0+0:vgprValuB_X0_I0+6+0+0+1], v[vgprValuA_X0_I0+0+0+0:vgprValuA_X0_I0+0+0+0+1], a[192:207]
/* numPrefetchIter=0 */
/* dataAtIterA=-1 numReadsIterA=1 skipReadsIterA=1 readsPerIterA=16 */
/* dataAtIterB=-1 numReadsIterB=1 skipReadsIterB=1 readsPerIterB=16 */


/* iter 1 (last unrolled loop) */

/*  grEndMfmaIndex:0, lwStartMfmaIndex:23, lwEndMfmaIndex:23  */
/*  numMfmaForLR:6, barrierMfmaIndex:25 */
/*  mfmaIndex:16  */
s_waitcnt lgkmcnt(0)                               // lgkmcnt=0 vmcnt=-1wait for prior local read local write old=0, new=0 newLW=0 newLR=0
/* pack scheduling: packAIdx:2, packBIdx:2 */
v_or_b32 v[vgprValuA_X1_I0+0], v[vgprValuA_X1_I0+0], v73 // pack two half Vgpr to one Vgpr
v_or_b32 v[vgprValuA_X1_I0+1], v[vgprValuA_X1_I0+1], v74 // pack two half Vgpr to one Vgpr
v_or_b32 v[vgprValuB_X1_I0+0], v[vgprValuB_X1_I0+0], v81 // pack two half Vgpr to one Vgpr
v_or_b32 v[vgprValuB_X1_I0+1], v[vgprValuB_X1_I0+1], v82 // pack two half Vgpr to one Vgpr
v_or_b32 v[vgprValuA_X1_I0+2], v[vgprValuA_X1_I0+2], v75 // pack two half Vgpr to one Vgpr
v_or_b32 v[vgprValuA_X1_I0+3], v[vgprValuA_X1_I0+3], v76 // pack two half Vgpr to one Vgpr
v_mfma_f32_32x32x8f16 a[0+0:15+0], v[vgprValuB_X1_I0+0+0+0:vgprValuB_X1_I0+0+0+0+1], v[vgprValuA_X1_I0+0+0+0:vgprValuA_X1_I0+0+0+0+1], a[0:15]
/*  mfmaIndex:17  */
/* pack scheduling: packAIdx:4, packBIdx:2 */
v_or_b32 v[vgprValuA_X1_I0+4], v[vgprValuA_X1_I0+4], v77 // pack two half Vgpr to one Vgpr
v_or_b32 v[vgprValuA_X1_I0+5], v[vgprValuA_X1_I0+5], v78 // pack two half Vgpr to one Vgpr
	;; [unrolled: 1-line block ×4, first 2 shown]
v_mfma_f32_32x32x8f16 a[16+0:31+0], v[vgprValuB_X1_I0+0+0+0:vgprValuB_X1_I0+0+0+0+1], v[vgprValuA_X1_I0+2+0+0:vgprValuA_X1_I0+2+0+0+1], a[16:31]
/*  mfmaIndex:18  */
/* pack scheduling: packAIdx:6, packBIdx:2 */
v_or_b32 v[vgprValuB_X1_I0+2], v[vgprValuB_X1_I0+2], v83 // pack two half Vgpr to one Vgpr
v_or_b32 v[vgprValuB_X1_I0+3], v[vgprValuB_X1_I0+3], v84 // pack two half Vgpr to one Vgpr
	;; [unrolled: 1-line block ×4, first 2 shown]
v_mfma_f32_32x32x8f16 a[32+0:47+0], v[vgprValuB_X1_I0+0+0+0:vgprValuB_X1_I0+0+0+0+1], v[vgprValuA_X1_I0+4+0+0:vgprValuA_X1_I0+4+0+0+1], a[32:47]
/*  mfmaIndex:19  */
/* pack scheduling: packAIdx:8, packBIdx:2 */
v_or_b32 v[vgprValuB_X1_I0+6], v[vgprValuB_X1_I0+6], v87 // pack two half Vgpr to one Vgpr
v_or_b32 v[vgprValuB_X1_I0+7], v[vgprValuB_X1_I0+7], v88 // pack two half Vgpr to one Vgpr
v_mfma_f32_32x32x8f16 a[48+0:63+0], v[vgprValuB_X1_I0+0+0+0:vgprValuB_X1_I0+0+0+0+1], v[vgprValuA_X1_I0+6+0+0:vgprValuA_X1_I0+6+0+0+1], a[48:63]
/*  mfmaIndex:20  */
v_mfma_f32_32x32x8f16 a[112+0:127+0], v[vgprValuB_X1_I0+2+0+0:vgprValuB_X1_I0+2+0+0+1], v[vgprValuA_X1_I0+6+0+0:vgprValuA_X1_I0+6+0+0+1], a[112:127]
/*  mfmaIndex:21  */
	;; [unrolled: 2-line block ×12, first 2 shown]
v_mfma_f32_32x32x8f16 a[192+0:207+0], v[vgprValuB_X1_I0+6+0+0:vgprValuB_X1_I0+6+0+0+1], v[vgprValuA_X1_I0+0+0+0:vgprValuA_X1_I0+0+0+0+1], a[192:207]
/* numPrefetchIter=0 */
/* dataAtIterA=0 numReadsIterA=1 skipReadsIterA=0 readsPerIterA=16 */
/* dataAtIterB=0 numReadsIterB=1 skipReadsIterB=0 readsPerIterB=16 */

/* Stores for OptNLL */
Summation_End_OptNLL_16:
/* endSummation: add vgpr [0...54) to pool */
.set NumFullBlocks, UNDEF
.set WgmRemainder1, UNDEF
.set MagicNumberWgmRemainder1, UNDEF

/* Mapping of Acc register -> C Vgpr register */
/* computeStoreVgprs */
v_lshrrev_b32 v4, 6, v[vgprSerial]                 // v4 = v[vgprSerial] / 64
v_and_b32 v1, 63, v[vgprSerial]                    // v1 = v[vgprSerial] % 64
v_lshrrev_b32 v1, 5, v1                            // v1 = v1 / 32
v_lshlrev_b32 v1, 0x2, v1                          // thread0 * continuous_output
v_lshrrev_b32 v5, 1, v4                            // v5 = v4 / 2
v_mul_lo_u32 v5, 0x20, v5                          // wave coordination offset 1
_v_add_lshl_u32 v1, v5, v1, 1                      // coordination 1 = vwb *(wave_id1 + tid1)
v_mul_lo_u32 v2, v1, s[sgprStrideC1J]              //  offset 1
v_mul_lo_u32 v3, v1, s[sgprStrideD1J]              //  offset 1
v_and_b32 v5, 1, v4                                // v5 = v4 % 2
v_mul_lo_u32 v5, 0x20, v5                          // wave coordination offset 0
v_and_b32 v0, 31, v[vgprSerial]                    // v0 = v[vgprSerial] % 32
_v_add_lshl_u32 v0, v5, v0, 2                      // coordination 0 = vwa *(wave_id0 + tid0)
s_mul_i32 s53, 256, s[sgprWorkGroup0]              // wgp0 * MT0
_v_add_u32 v0, s53, v0                             // coord 0 = (tid0/MI_m)*4 + waveG0*MIB_m + MT0*SG0
s_mul_i32 s53, 256, s[sgprWorkGroup1]              // wgp1 * MT1
_v_add_u32 v1, s53, v1                             // coord 1 = (tid0%MI_m) + waveG1*MIB_n + MT1*SG1
GW_B0_E0_19:

/* edge=0, allocate 2 sgpr. perBatchTmpS=2 perBatchMaskS=0 perElementMaskS=0 elementsPerBatch=60 */
/* optSingleColVgpr=1 optSharedColVgpr=0 optSGPRUsage=BufferLoad_Mask optSrdIncForRow=1 */

/******************************************/
/* Global Write Batch #0 (d1,d0,vc1,vc0) = */
/*    (0,0,0,0:vw4); (0,0,1,0:vw4); (0,0,2,0:vw4); (0,0,3,0:vw4); (0,0,4,0:vw4); (0,0,5,0:vw4); (0,0,6,0:vw4); (0,0,7,0:vw4); (1,0,0,0:vw4); (1,0,1,0:vw4); (1,0,2,0:vw4); (1,0,3,0:vw4); (1,0,4,0:vw4); (1,0,5,0:vw4); (1,0,6,0:vw4); (1,0,7,0:vw4); (2,0,0,0:vw4); (2,0,1,0:vw4); (2,0,2,0:vw4); (2,0,3,0:vw4); (2,0,4,0:vw4); (2,0,5,0:vw4); (2,0,6,0:vw4); (2,0,7,0:vw4); (3,0,0,0:vw4); (3,0,1,0:vw4); (3,0,2,0:vw4); (3,0,3,0:vw4); (3,0,4,0:vw4); (3,0,5,0:vw4); (3,0,6,0:vw4); (3,0,7,0:vw4); (4,0,0,0:vw4); (4,0,1,0:vw4); (4,0,2,0:vw4); (4,0,3,0:vw4); (4,0,4,0:vw4); (4,0,5,0:vw4); (4,0,6,0:vw4); (4,0,7,0:vw4); (5,0,0,0:vw4); (5,0,1,0:vw4); (5,0,2,0:vw4); (5,0,3,0:vw4); (5,0,4,0:vw4); (5,0,5,0:vw4); (5,0,6,0:vw4); (5,0,7,0:vw4); (6,0,0,0:vw4); (6,0,1,0:vw4); (6,0,2,0:vw4); (6,0,3,0:vw4); (6,0,4,0:vw4); (6,0,5,0:vw4); (6,0,6,0:vw4); (6,0,7,0:vw4); (7,0,0,0:vw4); (7,0,1,0:vw4); (7,0,2,0:vw4); (7,0,3,0:vw4) */
/******************************************/

/* calc coords, apply mask, and issue loads (if necessary) */
/* (d1,vc1,d0,vc0)=(0,0,0,0) */
/* (d1,vc1,d0,vc0)=(0,1,0,0) */
	;; [unrolled: 1-line block ×60, first 2 shown]
_v_add_lshl_u32 v6, v3, v0, 0x2                    // optSingleColVgpr scaleToBpe: sharedAddrVgpr <- cinRowPtr + coord0, scaled by BPE. BSHERE:coord0=0, coord0Vgpr=0
v_accvgpr_read_b32 v[vgprValuC+8], acc0 // copy acc to vreg[0]
v_accvgpr_read_b32 v[vgprValuC+9], acc16 // copy acc to vreg[1]
v_accvgpr_read_b32 v[vgprValuC+10], acc32 // copy acc to vreg[2]
v_accvgpr_read_b32 v[vgprValuC+11], acc48 // copy acc to vreg[3]
v_accvgpr_read_b32 v[vgprValuC+12], acc64 // copy acc to vreg[4]
v_accvgpr_read_b32 v[vgprValuC+13], acc80 // copy acc to vreg[5]
v_accvgpr_read_b32 v[vgprValuC+14], acc96 // copy acc to vreg[6]
v_accvgpr_read_b32 v[vgprValuC+15], acc112 // copy acc to vreg[7]
v_accvgpr_read_b32 v[vgprValuC+16], acc1 // copy acc to vreg[8]
v_accvgpr_read_b32 v[vgprValuC+17], acc17 // copy acc to vreg[9]
v_accvgpr_read_b32 v[vgprValuC+18], acc33 // copy acc to vreg[10]
v_accvgpr_read_b32 v[vgprValuC+19], acc49 // copy acc to vreg[11]
v_accvgpr_read_b32 v[vgprValuC+20], acc65 // copy acc to vreg[12]
v_accvgpr_read_b32 v[vgprValuC+21], acc81 // copy acc to vreg[13]
v_accvgpr_read_b32 v[vgprValuC+22], acc97 // copy acc to vreg[14]
v_accvgpr_read_b32 v[vgprValuC+23], acc113 // copy acc to vreg[15]
v_accvgpr_read_b32 v[vgprValuC+24], acc2 // copy acc to vreg[16]
v_accvgpr_read_b32 v[vgprValuC+25], acc18 // copy acc to vreg[17]
v_accvgpr_read_b32 v[vgprValuC+26], acc34 // copy acc to vreg[18]
v_accvgpr_read_b32 v[vgprValuC+27], acc50 // copy acc to vreg[19]
v_accvgpr_read_b32 v[vgprValuC+28], acc66 // copy acc to vreg[20]
v_accvgpr_read_b32 v[vgprValuC+29], acc82 // copy acc to vreg[21]
v_accvgpr_read_b32 v[vgprValuC+30], acc98 // copy acc to vreg[22]
v_accvgpr_read_b32 v[vgprValuC+31], acc114 // copy acc to vreg[23]
v_accvgpr_read_b32 v[vgprValuC+32], acc3 // copy acc to vreg[24]
v_accvgpr_read_b32 v[vgprValuC+33], acc19 // copy acc to vreg[25]
v_accvgpr_read_b32 v[vgprValuC+34], acc35 // copy acc to vreg[26]
v_accvgpr_read_b32 v[vgprValuC+35], acc51 // copy acc to vreg[27]
v_accvgpr_read_b32 v[vgprValuC+36], acc67 // copy acc to vreg[28]
v_accvgpr_read_b32 v[vgprValuC+37], acc83 // copy acc to vreg[29]
v_accvgpr_read_b32 v[vgprValuC+38], acc99 // copy acc to vreg[30]
v_accvgpr_read_b32 v[vgprValuC+39], acc115 // copy acc to vreg[31]
v_accvgpr_read_b32 v[vgprValuC+40], acc4 // copy acc to vreg[32]
v_accvgpr_read_b32 v[vgprValuC+41], acc20 // copy acc to vreg[33]
v_accvgpr_read_b32 v[vgprValuC+42], acc36 // copy acc to vreg[34]
v_accvgpr_read_b32 v[vgprValuC+43], acc52 // copy acc to vreg[35]
v_accvgpr_read_b32 v[vgprValuC+44], acc68 // copy acc to vreg[36]
v_accvgpr_read_b32 v[vgprValuC+45], acc84 // copy acc to vreg[37]
v_accvgpr_read_b32 v[vgprValuC+46], acc100 // copy acc to vreg[38]
v_accvgpr_read_b32 v[vgprValuC+47], acc116 // copy acc to vreg[39]
v_accvgpr_read_b32 v[vgprValuC+48], acc5 // copy acc to vreg[40]
v_accvgpr_read_b32 v[vgprValuC+49], acc21 // copy acc to vreg[41]
v_accvgpr_read_b32 v[vgprValuC+50], acc37 // copy acc to vreg[42]
v_accvgpr_read_b32 v[vgprValuC+51], acc53 // copy acc to vreg[43]
v_accvgpr_read_b32 v[vgprValuC+60], acc69 // copy acc to vreg[44]
v_accvgpr_read_b32 v[vgprValuC+61], acc85 // copy acc to vreg[45]
v_accvgpr_read_b32 v[vgprValuC+62], acc101 // copy acc to vreg[46]
v_accvgpr_read_b32 v[vgprValuC+63], acc117 // copy acc to vreg[47]
v_accvgpr_read_b32 v[vgprValuC+64], acc6 // copy acc to vreg[48]
v_accvgpr_read_b32 v[vgprValuC+65], acc22 // copy acc to vreg[49]
v_accvgpr_read_b32 v[vgprValuC+66], acc38 // copy acc to vreg[50]
v_accvgpr_read_b32 v[vgprValuC+67], acc54 // copy acc to vreg[51]
v_accvgpr_read_b32 v[vgprValuC+68], acc70 // copy acc to vreg[52]
v_accvgpr_read_b32 v[vgprValuC+69], acc86 // copy acc to vreg[53]
v_accvgpr_read_b32 v[vgprValuC+70], acc102 // copy acc to vreg[54]
v_accvgpr_read_b32 v[vgprValuC+71], acc118 // copy acc to vreg[55]
v_accvgpr_read_b32 v[vgprValuC+72], acc7 // copy acc to vreg[56]
v_accvgpr_read_b32 v[vgprValuC+73], acc23 // copy acc to vreg[57]
v_accvgpr_read_b32 v[vgprValuC+74], acc39 // copy acc to vreg[58]
v_accvgpr_read_b32 v[vgprValuC+75], acc55 // copy acc to vreg[59]
v_accvgpr_read_b32 v[vgprValuC+76], acc71 // copy acc to vreg[60]
v_accvgpr_read_b32 v[vgprValuC+77], acc87 // copy acc to vreg[61]
v_accvgpr_read_b32 v[vgprValuC+78], acc103 // copy acc to vreg[62]
v_accvgpr_read_b32 v[vgprValuC+79], acc119 // copy acc to vreg[63]
v_accvgpr_read_b32 v[vgprValuC+80], acc8 // copy acc to vreg[64]
v_accvgpr_read_b32 v[vgprValuC+81], acc24 // copy acc to vreg[65]
v_accvgpr_read_b32 v[vgprValuC+82], acc40 // copy acc to vreg[66]
v_accvgpr_read_b32 v[vgprValuC+83], acc56 // copy acc to vreg[67]
v_accvgpr_read_b32 v[vgprValuC+84], acc72 // copy acc to vreg[68]
v_accvgpr_read_b32 v[vgprValuC+85], acc88 // copy acc to vreg[69]
v_accvgpr_read_b32 v[vgprValuC+86], acc104 // copy acc to vreg[70]
v_accvgpr_read_b32 v[vgprValuC+87], acc120 // copy acc to vreg[71]
v_accvgpr_read_b32 v[vgprValuC+88], acc9 // copy acc to vreg[72]
v_accvgpr_read_b32 v[vgprValuC+89], acc25 // copy acc to vreg[73]
v_accvgpr_read_b32 v[vgprValuC+90], acc41 // copy acc to vreg[74]
v_accvgpr_read_b32 v[vgprValuC+91], acc57 // copy acc to vreg[75]
v_accvgpr_read_b32 v[vgprValuC+92], acc73 // copy acc to vreg[76]
v_accvgpr_read_b32 v[vgprValuC+93], acc89 // copy acc to vreg[77]
v_accvgpr_read_b32 v[vgprValuC+94], acc105 // copy acc to vreg[78]
v_accvgpr_read_b32 v[vgprValuC+95], acc121 // copy acc to vreg[79]
v_accvgpr_read_b32 v[vgprValuC+96], acc10 // copy acc to vreg[80]
v_accvgpr_read_b32 v[vgprValuC+97], acc26 // copy acc to vreg[81]
v_accvgpr_read_b32 v[vgprValuC+98], acc42 // copy acc to vreg[82]
v_accvgpr_read_b32 v[vgprValuC+99], acc58 // copy acc to vreg[83]
v_accvgpr_read_b32 v[vgprValuC+100], acc74 // copy acc to vreg[84]
v_accvgpr_read_b32 v[vgprValuC+101], acc90 // copy acc to vreg[85]
v_accvgpr_read_b32 v[vgprValuC+102], acc106 // copy acc to vreg[86]
v_accvgpr_read_b32 v[vgprValuC+103], acc122 // copy acc to vreg[87]
v_accvgpr_read_b32 v[vgprValuC+104], acc11 // copy acc to vreg[88]
v_accvgpr_read_b32 v[vgprValuC+105], acc27 // copy acc to vreg[89]
v_accvgpr_read_b32 v[vgprValuC+106], acc43 // copy acc to vreg[90]
v_accvgpr_read_b32 v[vgprValuC+107], acc59 // copy acc to vreg[91]
v_accvgpr_read_b32 v[vgprValuC+108], acc75 // copy acc to vreg[92]
v_accvgpr_read_b32 v[vgprValuC+109], acc91 // copy acc to vreg[93]
v_accvgpr_read_b32 v[vgprValuC+110], acc107 // copy acc to vreg[94]
v_accvgpr_read_b32 v[vgprValuC+111], acc123 // copy acc to vreg[95]
v_accvgpr_read_b32 v[vgprValuC+112], acc12 // copy acc to vreg[96]
v_accvgpr_read_b32 v[vgprValuC+113], acc28 // copy acc to vreg[97]
v_accvgpr_read_b32 v[vgprValuC+114], acc44 // copy acc to vreg[98]
v_accvgpr_read_b32 v[vgprValuC+115], acc60 // copy acc to vreg[99]
v_accvgpr_read_b32 v[vgprValuC+116], acc76 // copy acc to vreg[100]
v_accvgpr_read_b32 v[vgprValuC+117], acc92 // copy acc to vreg[101]
v_accvgpr_read_b32 v[vgprValuC+118], acc108 // copy acc to vreg[102]
v_accvgpr_read_b32 v[vgprValuC+119], acc124 // copy acc to vreg[103]
v_accvgpr_read_b32 v[vgprValuC+120], acc13 // copy acc to vreg[104]
v_accvgpr_read_b32 v[vgprValuC+121], acc29 // copy acc to vreg[105]
v_accvgpr_read_b32 v[vgprValuC+122], acc45 // copy acc to vreg[106]
v_accvgpr_read_b32 v[vgprValuC+123], acc61 // copy acc to vreg[107]
v_accvgpr_read_b32 v[vgprValuC+124], acc77 // copy acc to vreg[108]
v_accvgpr_read_b32 v[vgprValuC+125], acc93 // copy acc to vreg[109]
v_accvgpr_read_b32 v[vgprValuC+126], acc109 // copy acc to vreg[110]
v_accvgpr_read_b32 v[vgprValuC+127], acc125 // copy acc to vreg[111]
v_accvgpr_read_b32 v[vgprValuC+128], acc14 // copy acc to vreg[112]
v_accvgpr_read_b32 v[vgprValuC+129], acc30 // copy acc to vreg[113]
v_accvgpr_read_b32 v[vgprValuC+130], acc46 // copy acc to vreg[114]
v_accvgpr_read_b32 v[vgprValuC+131], acc62 // copy acc to vreg[115]
v_accvgpr_read_b32 v[vgprValuC+132], acc78 // copy acc to vreg[116]
v_accvgpr_read_b32 v[vgprValuC+133], acc94 // copy acc to vreg[117]
v_accvgpr_read_b32 v[vgprValuC+134], acc110 // copy acc to vreg[118]
v_accvgpr_read_b32 v[vgprValuC+135], acc126 // copy acc to vreg[119]
v_accvgpr_read_b32 v[vgprValuC+136], acc15 // copy acc to vreg[120]
v_accvgpr_read_b32 v[vgprValuC+137], acc31 // copy acc to vreg[121]
v_accvgpr_read_b32 v[vgprValuC+138], acc47 // copy acc to vreg[122]
v_accvgpr_read_b32 v[vgprValuC+139], acc63 // copy acc to vreg[123]
v_accvgpr_read_b32 v[vgprValuC+140], acc79 // copy acc to vreg[124]
v_accvgpr_read_b32 v[vgprValuC+141], acc95 // copy acc to vreg[125]
v_accvgpr_read_b32 v[vgprValuC+142], acc111 // copy acc to vreg[126]
v_accvgpr_read_b32 v[vgprValuC+143], acc127 // copy acc to vreg[127]
v_accvgpr_read_b32 v[vgprValuC+144], acc128 // copy acc to vreg[128]
v_accvgpr_read_b32 v[vgprValuC+145], acc144 // copy acc to vreg[129]
v_accvgpr_read_b32 v[vgprValuC+146], acc160 // copy acc to vreg[130]
v_accvgpr_read_b32 v[vgprValuC+147], acc176 // copy acc to vreg[131]
v_accvgpr_read_b32 v[vgprValuC+148], acc192 // copy acc to vreg[132]
v_accvgpr_read_b32 v[vgprValuC+149], acc208 // copy acc to vreg[133]
v_accvgpr_read_b32 v[vgprValuC+150], acc224 // copy acc to vreg[134]
v_accvgpr_read_b32 v[vgprValuC+151], acc240 // copy acc to vreg[135]
v_accvgpr_read_b32 v[vgprValuC+152], acc129 // copy acc to vreg[136]
v_accvgpr_read_b32 v[vgprValuC+153], acc145 // copy acc to vreg[137]
v_accvgpr_read_b32 v[vgprValuC+154], acc161 // copy acc to vreg[138]
v_accvgpr_read_b32 v[vgprValuC+155], acc177 // copy acc to vreg[139]
v_accvgpr_read_b32 v[vgprValuC+156], acc193 // copy acc to vreg[140]
v_accvgpr_read_b32 v[vgprValuC+157], acc209 // copy acc to vreg[141]
v_accvgpr_read_b32 v[vgprValuC+158], acc225 // copy acc to vreg[142]
v_accvgpr_read_b32 v[vgprValuC+159], acc241 // copy acc to vreg[143]
v_accvgpr_read_b32 v[vgprValuC+160], acc130 // copy acc to vreg[144]
v_accvgpr_read_b32 v[vgprValuC+161], acc146 // copy acc to vreg[145]
v_accvgpr_read_b32 v[vgprValuC+162], acc162 // copy acc to vreg[146]
v_accvgpr_read_b32 v[vgprValuC+163], acc178 // copy acc to vreg[147]
v_accvgpr_read_b32 v[vgprValuC+164], acc194 // copy acc to vreg[148]
v_accvgpr_read_b32 v[vgprValuC+165], acc210 // copy acc to vreg[149]
v_accvgpr_read_b32 v[vgprValuC+166], acc226 // copy acc to vreg[150]
v_accvgpr_read_b32 v[vgprValuC+167], acc242 // copy acc to vreg[151]
v_accvgpr_read_b32 v[vgprValuC+168], acc131 // copy acc to vreg[152]
v_accvgpr_read_b32 v[vgprValuC+169], acc147 // copy acc to vreg[153]
v_accvgpr_read_b32 v[vgprValuC+170], acc163 // copy acc to vreg[154]
v_accvgpr_read_b32 v[vgprValuC+171], acc179 // copy acc to vreg[155]
v_accvgpr_read_b32 v[vgprValuC+172], acc195 // copy acc to vreg[156]
v_accvgpr_read_b32 v[vgprValuC+173], acc211 // copy acc to vreg[157]
v_accvgpr_read_b32 v[vgprValuC+174], acc227 // copy acc to vreg[158]
v_accvgpr_read_b32 v[vgprValuC+175], acc243 // copy acc to vreg[159]
v_accvgpr_read_b32 v[vgprValuC+176], acc132 // copy acc to vreg[160]
v_accvgpr_read_b32 v[vgprValuC+177], acc148 // copy acc to vreg[161]
v_accvgpr_read_b32 v[vgprValuC+178], acc164 // copy acc to vreg[162]
v_accvgpr_read_b32 v[vgprValuC+179], acc180 // copy acc to vreg[163]
v_accvgpr_read_b32 v[vgprValuC+180], acc196 // copy acc to vreg[164]
v_accvgpr_read_b32 v[vgprValuC+181], acc212 // copy acc to vreg[165]
v_accvgpr_read_b32 v[vgprValuC+182], acc228 // copy acc to vreg[166]
v_accvgpr_read_b32 v[vgprValuC+183], acc244 // copy acc to vreg[167]
v_accvgpr_read_b32 v[vgprValuC+184], acc133 // copy acc to vreg[168]
v_accvgpr_read_b32 v[vgprValuC+185], acc149 // copy acc to vreg[169]
v_accvgpr_read_b32 v[vgprValuC+186], acc165 // copy acc to vreg[170]
v_accvgpr_read_b32 v[vgprValuC+187], acc181 // copy acc to vreg[171]
v_accvgpr_read_b32 v[vgprValuC+188], acc197 // copy acc to vreg[172]
v_accvgpr_read_b32 v[vgprValuC+189], acc213 // copy acc to vreg[173]
v_accvgpr_read_b32 v[vgprValuC+190], acc229 // copy acc to vreg[174]
v_accvgpr_read_b32 v[vgprValuC+191], acc245 // copy acc to vreg[175]
v_accvgpr_read_b32 v[vgprValuC+192], acc134 // copy acc to vreg[176]
v_accvgpr_read_b32 v[vgprValuC+193], acc150 // copy acc to vreg[177]
v_accvgpr_read_b32 v[vgprValuC+194], acc166 // copy acc to vreg[178]
v_accvgpr_read_b32 v[vgprValuC+195], acc182 // copy acc to vreg[179]
v_accvgpr_read_b32 v[vgprValuC+196], acc198 // copy acc to vreg[180]
v_accvgpr_read_b32 v[vgprValuC+197], acc214 // copy acc to vreg[181]
v_accvgpr_read_b32 v[vgprValuC+198], acc230 // copy acc to vreg[182]
v_accvgpr_read_b32 v[vgprValuC+199], acc246 // copy acc to vreg[183]
v_accvgpr_read_b32 v[vgprValuC+200], acc135 // copy acc to vreg[184]
v_accvgpr_read_b32 v[vgprValuC+201], acc151 // copy acc to vreg[185]
v_accvgpr_read_b32 v[vgprValuC+202], acc167 // copy acc to vreg[186]
v_accvgpr_read_b32 v[vgprValuC+203], acc183 // copy acc to vreg[187]
v_accvgpr_read_b32 v[vgprValuC+204], acc199 // copy acc to vreg[188]
v_accvgpr_read_b32 v[vgprValuC+205], acc215 // copy acc to vreg[189]
v_accvgpr_read_b32 v[vgprValuC+206], acc231 // copy acc to vreg[190]
v_accvgpr_read_b32 v[vgprValuC+207], acc247 // copy acc to vreg[191]
v_accvgpr_read_b32 v[vgprValuC+208], acc136 // copy acc to vreg[192]
v_accvgpr_read_b32 v[vgprValuC+209], acc152 // copy acc to vreg[193]
v_accvgpr_read_b32 v[vgprValuC+210], acc168 // copy acc to vreg[194]
v_accvgpr_read_b32 v[vgprValuC+211], acc184 // copy acc to vreg[195]
v_accvgpr_read_b32 v[vgprValuC+212], acc200 // copy acc to vreg[196]
v_accvgpr_read_b32 v[vgprValuC+213], acc216 // copy acc to vreg[197]
v_accvgpr_read_b32 v[vgprValuC+214], acc232 // copy acc to vreg[198]
v_accvgpr_read_b32 v[vgprValuC+215], acc248 // copy acc to vreg[199]
v_accvgpr_read_b32 v[vgprValuC+216], acc137 // copy acc to vreg[200]
v_accvgpr_read_b32 v[vgprValuC+217], acc153 // copy acc to vreg[201]
v_accvgpr_read_b32 v[vgprValuC+218], acc169 // copy acc to vreg[202]
v_accvgpr_read_b32 v[vgprValuC+219], acc185 // copy acc to vreg[203]
v_accvgpr_read_b32 v[vgprValuC+220], acc201 // copy acc to vreg[204]
v_accvgpr_read_b32 v[vgprValuC+221], acc217 // copy acc to vreg[205]
v_accvgpr_read_b32 v[vgprValuC+222], acc233 // copy acc to vreg[206]
v_accvgpr_read_b32 v[vgprValuC+223], acc249 // copy acc to vreg[207]
v_accvgpr_read_b32 v[vgprValuC+224], acc138 // copy acc to vreg[208]
v_accvgpr_read_b32 v[vgprValuC+225], acc154 // copy acc to vreg[209]
v_accvgpr_read_b32 v[vgprValuC+226], acc170 // copy acc to vreg[210]
v_accvgpr_read_b32 v[vgprValuC+227], acc186 // copy acc to vreg[211]
v_accvgpr_read_b32 v[vgprValuC+228], acc202 // copy acc to vreg[212]
v_accvgpr_read_b32 v[vgprValuC+229], acc218 // copy acc to vreg[213]
v_accvgpr_read_b32 v[vgprValuC+230], acc234 // copy acc to vreg[214]
v_accvgpr_read_b32 v[vgprValuC+231], acc250 // copy acc to vreg[215]
v_accvgpr_read_b32 v[vgprValuC+232], acc139 // copy acc to vreg[216]
v_accvgpr_read_b32 v[vgprValuC+233], acc155 // copy acc to vreg[217]
v_accvgpr_read_b32 v[vgprValuC+234], acc171 // copy acc to vreg[218]
v_accvgpr_read_b32 v[vgprValuC+235], acc187 // copy acc to vreg[219]
v_accvgpr_read_b32 v[vgprValuC+236], acc203 // copy acc to vreg[220]
v_accvgpr_read_b32 v[vgprValuC+237], acc219 // copy acc to vreg[221]
v_accvgpr_read_b32 v[vgprValuC+238], acc235 // copy acc to vreg[222]
v_accvgpr_read_b32 v[vgprValuC+239], acc251 // copy acc to vreg[223]
v_accvgpr_read_b32 v[vgprValuC+240], acc140 // copy acc to vreg[224]
v_accvgpr_read_b32 v[vgprValuC+241], acc156 // copy acc to vreg[225]
v_accvgpr_read_b32 v[vgprValuC+242], acc172 // copy acc to vreg[226]
v_accvgpr_read_b32 v[vgprValuC+243], acc188 // copy acc to vreg[227]
v_accvgpr_read_b32 v[vgprValuC+244], acc204 // copy acc to vreg[228]
v_accvgpr_read_b32 v[vgprValuC+245], acc220 // copy acc to vreg[229]
v_accvgpr_read_b32 v[vgprValuC+246], acc236 // copy acc to vreg[230]
v_accvgpr_read_b32 v[vgprValuC+247], acc252 // copy acc to vreg[231]
v_accvgpr_read_b32 v[vgprValuC+248], acc141 // copy acc to vreg[232]
v_accvgpr_read_b32 v[vgprValuC+249], acc157 // copy acc to vreg[233]
v_accvgpr_read_b32 v[vgprValuC+250], acc173 // copy acc to vreg[234]
v_accvgpr_read_b32 v[vgprValuC+251], acc189 // copy acc to vreg[235]
v_accvgpr_read_b32 v[vgprValuC+252], acc205 // copy acc to vreg[236]
v_accvgpr_read_b32 v[vgprValuC+253], acc221 // copy acc to vreg[237]
v_accvgpr_read_b32 v[vgprValuC+254], acc237 // copy acc to vreg[238]
v_accvgpr_read_b32 v[vgprValuC+255], acc253 // copy acc to vreg[239]
s_nop 1                                            // 2 wait states required before reading vgpr

/* apply mask, calc new C and issue writes */
_buffer_store_b128 v[8:11], v6, s[sgprSrdD:sgprSrdD+3], 0, offen, offset:0 // store D
s_lshl_b32  s54, s[sgprStrideD1J], 2               // incToNextRow: Scale by BPE
s_add_u32  s[sgprSrdD+0], s[sgprSrdD+0], s54       // incToNextRow: gra SRD += inc(lower)
s_addc_u32  s[sgprSrdD+1], s[sgprSrdD+1], 0        // incToNextRow: gra SRD += inc(upper)
_buffer_store_b128 v[12:15], v6, s[sgprSrdD:sgprSrdD+3], 0, offen, offset:0 // store D
s_lshl_b32  s54, s[sgprStrideD1J], 2               // incToNextRow: Scale by BPE
s_add_u32  s[sgprSrdD+0], s[sgprSrdD+0], s54       // incToNextRow: gra SRD += inc(lower)
s_addc_u32  s[sgprSrdD+1], s[sgprSrdD+1], 0        // incToNextRow: gra SRD += inc(upper)
_buffer_store_b128 v[16:19], v6, s[sgprSrdD:sgprSrdD+3], 0, offen, offset:0 // store D
s_lshl_b32  s54, s[sgprStrideD1J], 2               // incToNextRow: Scale by BPE
s_add_u32  s[sgprSrdD+0], s[sgprSrdD+0], s54       // incToNextRow: gra SRD += inc(lower)
s_addc_u32  s[sgprSrdD+1], s[sgprSrdD+1], 0        // incToNextRow: gra SRD += inc(upper)
_buffer_store_b128 v[20:23], v6, s[sgprSrdD:sgprSrdD+3], 0, offen, offset:0 // store D
s_lshl_b32  s54, s[sgprStrideD1J], 2               // incToNextRow: Scale by BPE
s_add_u32  s[sgprSrdD+0], s[sgprSrdD+0], s54       // incToNextRow: gra SRD += inc(lower)
s_addc_u32  s[sgprSrdD+1], s[sgprSrdD+1], 0        // incToNextRow: gra SRD += inc(upper)
_buffer_store_b128 v[24:27], v6, s[sgprSrdD:sgprSrdD+3], 0, offen, offset:0 // store D
s_lshl_b32  s54, s[sgprStrideD1J], 2               // incToNextRow: Scale by BPE
s_add_u32  s[sgprSrdD+0], s[sgprSrdD+0], s54       // incToNextRow: gra SRD += inc(lower)
s_addc_u32  s[sgprSrdD+1], s[sgprSrdD+1], 0        // incToNextRow: gra SRD += inc(upper)
_buffer_store_b128 v[28:31], v6, s[sgprSrdD:sgprSrdD+3], 0, offen, offset:0 // store D
s_lshl_b32  s54, s[sgprStrideD1J], 2               // incToNextRow: Scale by BPE
s_add_u32  s[sgprSrdD+0], s[sgprSrdD+0], s54       // incToNextRow: gra SRD += inc(lower)
s_addc_u32  s[sgprSrdD+1], s[sgprSrdD+1], 0        // incToNextRow: gra SRD += inc(upper)
_buffer_store_b128 v[32:35], v6, s[sgprSrdD:sgprSrdD+3], 0, offen, offset:0 // store D
s_lshl_b32  s54, s[sgprStrideD1J], 2               // incToNextRow: Scale by BPE
s_add_u32  s[sgprSrdD+0], s[sgprSrdD+0], s54       // incToNextRow: gra SRD += inc(lower)
s_addc_u32  s[sgprSrdD+1], s[sgprSrdD+1], 0        // incToNextRow: gra SRD += inc(upper)
_buffer_store_b128 v[36:39], v6, s[sgprSrdD:sgprSrdD+3], 0, offen, offset:0 // store D
s_mul_i32 s54, s[sgprStrideD1J], 36                // scale StrideD *= numRows(9) * bpe
s_add_u32  s[sgprSrdD+0], s[sgprSrdD+0], s54       // incToNextRow: gra SRD += inc(lower)
s_addc_u32  s[sgprSrdD+1], s[sgprSrdD+1], 0        // incToNextRow: gra SRD += inc(upper)
_buffer_store_b128 v[40:43], v6, s[sgprSrdD:sgprSrdD+3], 0, offen, offset:0 // store D
s_lshl_b32  s54, s[sgprStrideD1J], 2               // incToNextRow: Scale by BPE
s_add_u32  s[sgprSrdD+0], s[sgprSrdD+0], s54       // incToNextRow: gra SRD += inc(lower)
s_addc_u32  s[sgprSrdD+1], s[sgprSrdD+1], 0        // incToNextRow: gra SRD += inc(upper)
_buffer_store_b128 v[44:47], v6, s[sgprSrdD:sgprSrdD+3], 0, offen, offset:0 // store D
s_lshl_b32  s54, s[sgprStrideD1J], 2               // incToNextRow: Scale by BPE
s_add_u32  s[sgprSrdD+0], s[sgprSrdD+0], s54       // incToNextRow: gra SRD += inc(lower)
s_addc_u32  s[sgprSrdD+1], s[sgprSrdD+1], 0        // incToNextRow: gra SRD += inc(upper)
_buffer_store_b128 v[48:51], v6, s[sgprSrdD:sgprSrdD+3], 0, offen, offset:0 // store D
s_lshl_b32  s54, s[sgprStrideD1J], 2               // incToNextRow: Scale by BPE
s_add_u32  s[sgprSrdD+0], s[sgprSrdD+0], s54       // incToNextRow: gra SRD += inc(lower)
s_addc_u32  s[sgprSrdD+1], s[sgprSrdD+1], 0        // incToNextRow: gra SRD += inc(upper)
_buffer_store_b128 v[60:63], v6, s[sgprSrdD:sgprSrdD+3], 0, offen, offset:0 // store D
s_lshl_b32  s54, s[sgprStrideD1J], 2               // incToNextRow: Scale by BPE
s_add_u32  s[sgprSrdD+0], s[sgprSrdD+0], s54       // incToNextRow: gra SRD += inc(lower)
s_addc_u32  s[sgprSrdD+1], s[sgprSrdD+1], 0        // incToNextRow: gra SRD += inc(upper)
_buffer_store_b128 v[64:67], v6, s[sgprSrdD:sgprSrdD+3], 0, offen, offset:0 // store D
s_lshl_b32  s54, s[sgprStrideD1J], 2               // incToNextRow: Scale by BPE
s_add_u32  s[sgprSrdD+0], s[sgprSrdD+0], s54       // incToNextRow: gra SRD += inc(lower)
s_addc_u32  s[sgprSrdD+1], s[sgprSrdD+1], 0        // incToNextRow: gra SRD += inc(upper)
_buffer_store_b128 v[68:71], v6, s[sgprSrdD:sgprSrdD+3], 0, offen, offset:0 // store D
s_lshl_b32  s54, s[sgprStrideD1J], 2               // incToNextRow: Scale by BPE
s_add_u32  s[sgprSrdD+0], s[sgprSrdD+0], s54       // incToNextRow: gra SRD += inc(lower)
s_addc_u32  s[sgprSrdD+1], s[sgprSrdD+1], 0        // incToNextRow: gra SRD += inc(upper)
_buffer_store_b128 v[72:75], v6, s[sgprSrdD:sgprSrdD+3], 0, offen, offset:0 // store D
s_lshl_b32  s54, s[sgprStrideD1J], 2               // incToNextRow: Scale by BPE
s_add_u32  s[sgprSrdD+0], s[sgprSrdD+0], s54       // incToNextRow: gra SRD += inc(lower)
s_addc_u32  s[sgprSrdD+1], s[sgprSrdD+1], 0        // incToNextRow: gra SRD += inc(upper)
_buffer_store_b128 v[76:79], v6, s[sgprSrdD:sgprSrdD+3], 0, offen, offset:0 // store D
s_mul_i32 s54, s[sgprStrideD1J], 36                // scale StrideD *= numRows(9) * bpe
s_add_u32  s[sgprSrdD+0], s[sgprSrdD+0], s54       // incToNextRow: gra SRD += inc(lower)
s_addc_u32  s[sgprSrdD+1], s[sgprSrdD+1], 0        // incToNextRow: gra SRD += inc(upper)
	;; [unrolled: 32-line block ×3, first 2 shown]
_buffer_store_b128 v[112:115], v6, s[sgprSrdD:sgprSrdD+3], 0, offen, offset:0 // store D
s_lshl_b32  s54, s[sgprStrideD1J], 2               // incToNextRow: Scale by BPE
s_add_u32  s[sgprSrdD+0], s[sgprSrdD+0], s54       // incToNextRow: gra SRD += inc(lower)
s_addc_u32  s[sgprSrdD+1], s[sgprSrdD+1], 0        // incToNextRow: gra SRD += inc(upper)
_buffer_store_b128 v[116:119], v6, s[sgprSrdD:sgprSrdD+3], 0, offen, offset:0 // store D
s_lshl_b32  s54, s[sgprStrideD1J], 2               // incToNextRow: Scale by BPE
s_add_u32  s[sgprSrdD+0], s[sgprSrdD+0], s54       // incToNextRow: gra SRD += inc(lower)
s_addc_u32  s[sgprSrdD+1], s[sgprSrdD+1], 0        // incToNextRow: gra SRD += inc(upper)
	;; [unrolled: 4-line block ×7, first 2 shown]
_buffer_store_b128 v[140:143], v6, s[sgprSrdD:sgprSrdD+3], 0, offen, offset:0 // store D
s_mul_i32 s54, s[sgprStrideD1J], 292               // scale StrideD *= numRows(73) * bpe
s_add_u32  s[sgprSrdD+0], s[sgprSrdD+0], s54       // incToNextRow: gra SRD += inc(lower)
s_addc_u32  s[sgprSrdD+1], s[sgprSrdD+1], 0        // incToNextRow: gra SRD += inc(upper)
_buffer_store_b128 v[144:147], v6, s[sgprSrdD:sgprSrdD+3], 0, offen, offset:0 // store D
s_lshl_b32  s54, s[sgprStrideD1J], 2               // incToNextRow: Scale by BPE
s_add_u32  s[sgprSrdD+0], s[sgprSrdD+0], s54       // incToNextRow: gra SRD += inc(lower)
s_addc_u32  s[sgprSrdD+1], s[sgprSrdD+1], 0        // incToNextRow: gra SRD += inc(upper)
_buffer_store_b128 v[148:151], v6, s[sgprSrdD:sgprSrdD+3], 0, offen, offset:0 // store D
s_lshl_b32  s54, s[sgprStrideD1J], 2               // incToNextRow: Scale by BPE
s_add_u32  s[sgprSrdD+0], s[sgprSrdD+0], s54       // incToNextRow: gra SRD += inc(lower)
s_addc_u32  s[sgprSrdD+1], s[sgprSrdD+1], 0        // incToNextRow: gra SRD += inc(upper)
_buffer_store_b128 v[152:155], v6, s[sgprSrdD:sgprSrdD+3], 0, offen, offset:0 // store D
s_lshl_b32  s54, s[sgprStrideD1J], 2               // incToNextRow: Scale by BPE
s_add_u32  s[sgprSrdD+0], s[sgprSrdD+0], s54       // incToNextRow: gra SRD += inc(lower)
s_addc_u32  s[sgprSrdD+1], s[sgprSrdD+1], 0        // incToNextRow: gra SRD += inc(upper)
_buffer_store_b128 v[156:159], v6, s[sgprSrdD:sgprSrdD+3], 0, offen, offset:0 // store D
s_lshl_b32  s54, s[sgprStrideD1J], 2               // incToNextRow: Scale by BPE
s_add_u32  s[sgprSrdD+0], s[sgprSrdD+0], s54       // incToNextRow: gra SRD += inc(lower)
s_addc_u32  s[sgprSrdD+1], s[sgprSrdD+1], 0        // incToNextRow: gra SRD += inc(upper)
_buffer_store_b128 v[160:163], v6, s[sgprSrdD:sgprSrdD+3], 0, offen, offset:0 // store D
s_lshl_b32  s54, s[sgprStrideD1J], 2               // incToNextRow: Scale by BPE
s_add_u32  s[sgprSrdD+0], s[sgprSrdD+0], s54       // incToNextRow: gra SRD += inc(lower)
s_addc_u32  s[sgprSrdD+1], s[sgprSrdD+1], 0        // incToNextRow: gra SRD += inc(upper)
_buffer_store_b128 v[164:167], v6, s[sgprSrdD:sgprSrdD+3], 0, offen, offset:0 // store D
s_lshl_b32  s54, s[sgprStrideD1J], 2               // incToNextRow: Scale by BPE
s_add_u32  s[sgprSrdD+0], s[sgprSrdD+0], s54       // incToNextRow: gra SRD += inc(lower)
s_addc_u32  s[sgprSrdD+1], s[sgprSrdD+1], 0        // incToNextRow: gra SRD += inc(upper)
_buffer_store_b128 v[168:171], v6, s[sgprSrdD:sgprSrdD+3], 0, offen, offset:0 // store D
s_lshl_b32  s54, s[sgprStrideD1J], 2               // incToNextRow: Scale by BPE
s_add_u32  s[sgprSrdD+0], s[sgprSrdD+0], s54       // incToNextRow: gra SRD += inc(lower)
s_addc_u32  s[sgprSrdD+1], s[sgprSrdD+1], 0        // incToNextRow: gra SRD += inc(upper)
_buffer_store_b128 v[172:175], v6, s[sgprSrdD:sgprSrdD+3], 0, offen, offset:0 // store D
s_mul_i32 s54, s[sgprStrideD1J], 36                // scale StrideD *= numRows(9) * bpe
s_add_u32  s[sgprSrdD+0], s[sgprSrdD+0], s54       // incToNextRow: gra SRD += inc(lower)
s_addc_u32  s[sgprSrdD+1], s[sgprSrdD+1], 0        // incToNextRow: gra SRD += inc(upper)
_buffer_store_b128 v[176:179], v6, s[sgprSrdD:sgprSrdD+3], 0, offen, offset:0 // store D
s_lshl_b32  s54, s[sgprStrideD1J], 2               // incToNextRow: Scale by BPE
s_add_u32  s[sgprSrdD+0], s[sgprSrdD+0], s54       // incToNextRow: gra SRD += inc(lower)
s_addc_u32  s[sgprSrdD+1], s[sgprSrdD+1], 0        // incToNextRow: gra SRD += inc(upper)
_buffer_store_b128 v[180:183], v6, s[sgprSrdD:sgprSrdD+3], 0, offen, offset:0 // store D
s_lshl_b32  s54, s[sgprStrideD1J], 2               // incToNextRow: Scale by BPE
s_add_u32  s[sgprSrdD+0], s[sgprSrdD+0], s54       // incToNextRow: gra SRD += inc(lower)
s_addc_u32  s[sgprSrdD+1], s[sgprSrdD+1], 0        // incToNextRow: gra SRD += inc(upper)
_buffer_store_b128 v[184:187], v6, s[sgprSrdD:sgprSrdD+3], 0, offen, offset:0 // store D
s_lshl_b32  s54, s[sgprStrideD1J], 2               // incToNextRow: Scale by BPE
s_add_u32  s[sgprSrdD+0], s[sgprSrdD+0], s54       // incToNextRow: gra SRD += inc(lower)
s_addc_u32  s[sgprSrdD+1], s[sgprSrdD+1], 0        // incToNextRow: gra SRD += inc(upper)
_buffer_store_b128 v[188:191], v6, s[sgprSrdD:sgprSrdD+3], 0, offen, offset:0 // store D
s_lshl_b32  s54, s[sgprStrideD1J], 2               // incToNextRow: Scale by BPE
s_add_u32  s[sgprSrdD+0], s[sgprSrdD+0], s54       // incToNextRow: gra SRD += inc(lower)
s_addc_u32  s[sgprSrdD+1], s[sgprSrdD+1], 0        // incToNextRow: gra SRD += inc(upper)
_buffer_store_b128 v[192:195], v6, s[sgprSrdD:sgprSrdD+3], 0, offen, offset:0 // store D
s_lshl_b32  s54, s[sgprStrideD1J], 2               // incToNextRow: Scale by BPE
s_add_u32  s[sgprSrdD+0], s[sgprSrdD+0], s54       // incToNextRow: gra SRD += inc(lower)
s_addc_u32  s[sgprSrdD+1], s[sgprSrdD+1], 0        // incToNextRow: gra SRD += inc(upper)
_buffer_store_b128 v[196:199], v6, s[sgprSrdD:sgprSrdD+3], 0, offen, offset:0 // store D
s_lshl_b32  s54, s[sgprStrideD1J], 2               // incToNextRow: Scale by BPE
s_add_u32  s[sgprSrdD+0], s[sgprSrdD+0], s54       // incToNextRow: gra SRD += inc(lower)
s_addc_u32  s[sgprSrdD+1], s[sgprSrdD+1], 0        // incToNextRow: gra SRD += inc(upper)
_buffer_store_b128 v[200:203], v6, s[sgprSrdD:sgprSrdD+3], 0, offen, offset:0 // store D
s_lshl_b32  s54, s[sgprStrideD1J], 2               // incToNextRow: Scale by BPE
s_add_u32  s[sgprSrdD+0], s[sgprSrdD+0], s54       // incToNextRow: gra SRD += inc(lower)
s_addc_u32  s[sgprSrdD+1], s[sgprSrdD+1], 0        // incToNextRow: gra SRD += inc(upper)
_buffer_store_b128 v[204:207], v6, s[sgprSrdD:sgprSrdD+3], 0, offen, offset:0 // store D
s_mul_i32 s54, s[sgprStrideD1J], 36                // scale StrideD *= numRows(9) * bpe
	;; [unrolled: 32-line block ×3, first 2 shown]
s_add_u32  s[sgprSrdD+0], s[sgprSrdD+0], s54       // incToNextRow: gra SRD += inc(lower)
s_addc_u32  s[sgprSrdD+1], s[sgprSrdD+1], 0        // incToNextRow: gra SRD += inc(upper)
_buffer_store_b128 v[240:243], v6, s[sgprSrdD:sgprSrdD+3], 0, offen, offset:0 // store D
s_lshl_b32  s54, s[sgprStrideD1J], 2               // incToNextRow: Scale by BPE
s_add_u32  s[sgprSrdD+0], s[sgprSrdD+0], s54       // incToNextRow: gra SRD += inc(lower)
s_addc_u32  s[sgprSrdD+1], s[sgprSrdD+1], 0        // incToNextRow: gra SRD += inc(upper)
_buffer_store_b128 v[244:247], v6, s[sgprSrdD:sgprSrdD+3], 0, offen, offset:0 // store D
s_lshl_b32  s54, s[sgprStrideD1J], 2               // incToNextRow: Scale by BPE
	;; [unrolled: 4-line block ×3, first 2 shown]
s_add_u32  s[sgprSrdD+0], s[sgprSrdD+0], s54       // incToNextRow: gra SRD += inc(lower)
s_addc_u32  s[sgprSrdD+1], s[sgprSrdD+1], 0        // incToNextRow: gra SRD += inc(upper)
_buffer_store_b128 v[252:255], v6, s[sgprSrdD:sgprSrdD+3], 0, offen, offset:0 // store D
s_nop 0                                            // 1 wait state required when next inst writes vgprs held by previous dwordx4 store inst
/* optSingleColVgpr=1 optSharedColVgpr=0 optSGPRUsage=BufferLoad_Mask optSrdIncForRow=1 */

/******************************************/
/* Global Write Batch #1 (d1,d0,vc1,vc0) = */
/*    (7,0,4,0:vw4); (7,0,5,0:vw4); (7,0,6,0:vw4); (7,0,7,0:vw4) */
/******************************************/

/* calc coords, apply mask, and issue loads (if necessary) */
/* (d1,vc1,d0,vc0)=(7,4,0,0) */
/* (d1,vc1,d0,vc0)=(7,5,0,0) */
	;; [unrolled: 1-line block ×4, first 2 shown]
v_accvgpr_read_b32 v[vgprValuC+8], acc142 // copy acc to vreg[240]
v_accvgpr_read_b32 v[vgprValuC+9], acc158 // copy acc to vreg[241]
v_accvgpr_read_b32 v[vgprValuC+10], acc174 // copy acc to vreg[242]
v_accvgpr_read_b32 v[vgprValuC+11], acc190 // copy acc to vreg[243]
v_accvgpr_read_b32 v[vgprValuC+12], acc206 // copy acc to vreg[244]
v_accvgpr_read_b32 v[vgprValuC+13], acc222 // copy acc to vreg[245]
v_accvgpr_read_b32 v[vgprValuC+14], acc238 // copy acc to vreg[246]
v_accvgpr_read_b32 v[vgprValuC+15], acc254 // copy acc to vreg[247]
v_accvgpr_read_b32 v[vgprValuC+16], acc143 // copy acc to vreg[248]
v_accvgpr_read_b32 v[vgprValuC+17], acc159 // copy acc to vreg[249]
v_accvgpr_read_b32 v[vgprValuC+18], acc175 // copy acc to vreg[250]
v_accvgpr_read_b32 v[vgprValuC+19], acc191 // copy acc to vreg[251]
v_accvgpr_read_b32 v[vgprValuC+20], acc207 // copy acc to vreg[252]
v_accvgpr_read_b32 v[vgprValuC+21], acc223 // copy acc to vreg[253]
v_accvgpr_read_b32 v[vgprValuC+22], acc239 // copy acc to vreg[254]
v_accvgpr_read_b32 v[vgprValuC+23], acc255 // copy acc to vreg[255]
s_nop 1                                            // 2 wait states required before reading vgpr

/* apply mask, calc new C and issue writes */
s_lshl_b32  s54, s[sgprStrideD1J], 2               // incToNextRow: Scale by BPE
s_add_u32  s[sgprSrdD+0], s[sgprSrdD+0], s54       // incToNextRow: gra SRD += inc(lower)
s_addc_u32  s[sgprSrdD+1], s[sgprSrdD+1], 0        // incToNextRow: gra SRD += inc(upper)
_buffer_store_b128 v[8:11], v6, s[sgprSrdD:sgprSrdD+3], 0, offen, offset:0 // store D
s_lshl_b32  s54, s[sgprStrideD1J], 2               // incToNextRow: Scale by BPE
s_add_u32  s[sgprSrdD+0], s[sgprSrdD+0], s54       // incToNextRow: gra SRD += inc(lower)
s_addc_u32  s[sgprSrdD+1], s[sgprSrdD+1], 0        // incToNextRow: gra SRD += inc(upper)
_buffer_store_b128 v[12:15], v6, s[sgprSrdD:sgprSrdD+3], 0, offen, offset:0 // store D
	;; [unrolled: 4-line block ×4, first 2 shown]
s_nop 0                                            // 1 wait state required when next inst writes vgprs held by previous dwordx4 store inst
s_branch label_GW_End_21                           // jump to end
label_GW_End_21:

s_endpgm                                           // Kernel End
OptNLL_End_15:


/******************************************/
/* Ord. NoLoadLoop - Begin                                      */
/******************************************/


	;; [unrolled: 1-line block ×4, first 2 shown]
/* iter 0 (last unrolled loop) */

/*  grEndMfmaIndex:0, lwStartMfmaIndex:23, lwEndMfmaIndex:23  */
/*  numMfmaForLR:6, barrierMfmaIndex:25 */
/*  mfmaIndex:0  */
s_waitcnt lgkmcnt(0)                               // lgkmcnt=0 vmcnt=-1wait for prior local read local write old=0, new=0 newLW=0 newLR=0
/* pack scheduling: packAIdx:2, packBIdx:2 */
v_or_b32 v[vgprValuA_X0_I0+0], v[vgprValuA_X0_I0+0], v57 // pack two half Vgpr to one Vgpr
v_or_b32 v[vgprValuA_X0_I0+1], v[vgprValuA_X0_I0+1], v58 // pack two half Vgpr to one Vgpr
v_or_b32 v[vgprValuB_X0_I0+0], v[vgprValuB_X0_I0+0], v65 // pack two half Vgpr to one Vgpr
v_or_b32 v[vgprValuB_X0_I0+1], v[vgprValuB_X0_I0+1], v66 // pack two half Vgpr to one Vgpr
v_or_b32 v[vgprValuA_X0_I0+2], v[vgprValuA_X0_I0+2], v59 // pack two half Vgpr to one Vgpr
v_or_b32 v[vgprValuA_X0_I0+3], v[vgprValuA_X0_I0+3], v60 // pack two half Vgpr to one Vgpr
v_mfma_f32_32x32x8f16 a[0+0:15+0], v[vgprValuB_X0_I0+0+0+0:vgprValuB_X0_I0+0+0+0+1], v[vgprValuA_X0_I0+0+0+0:vgprValuA_X0_I0+0+0+0+1], a[0:15]
/*  mfmaIndex:1  */
_ds_load_u16 v[vgprValuA_X1_I0+0], v[vgprLocalReadAddrA] offset:4096 // L -> Reg lro=2048 swapByteOffset=0 ti=256 vIdx=0 rIdx=0 oIdx=0 buffer=1 iui=0
_ds_load_u16_d16_hi v73, v[vgprLocalReadAddrA] offset:4608 // L -> Reg lro=2048 swapByteOffset=0 ti=256 vIdx=0 rIdx=1 oIdx=0 buffer=1 iui=0
_ds_load_u16 v[vgprValuA_X1_I0+1], v[vgprLocalReadAddrA] offset:5120 // L -> Reg lro=2048 swapByteOffset=0 ti=256 vIdx=0 rIdx=2 oIdx=0 buffer=1 iui=0
_ds_load_u16_d16_hi v74, v[vgprLocalReadAddrA] offset:5632 // L -> Reg lro=2048 swapByteOffset=0 ti=256 vIdx=0 rIdx=3 oIdx=0 buffer=1 iui=0
_ds_load_u16 v[vgprValuB_X1_I0+0], v[vgprLocalReadAddrB] offset:4096 // L -> Reg lro=2048 swapByteOffset=0 ti=128 vIdx=0 rIdx=0 oIdx=0 buffer=1 iui=0
_ds_load_u16_d16_hi v81, v[vgprLocalReadAddrB] offset:4608 // L -> Reg lro=2048 swapByteOffset=0 ti=128 vIdx=0 rIdx=1 oIdx=0 buffer=1 iui=0
/* pack scheduling: packAIdx:4, packBIdx:2 */
v_or_b32 v[vgprValuA_X0_I0+4], v[vgprValuA_X0_I0+4], v61 // pack two half Vgpr to one Vgpr
v_or_b32 v[vgprValuA_X0_I0+5], v[vgprValuA_X0_I0+5], v62 // pack two half Vgpr to one Vgpr
	;; [unrolled: 1-line block ×4, first 2 shown]
v_mfma_f32_32x32x8f16 a[16+0:31+0], v[vgprValuB_X0_I0+0+0+0:vgprValuB_X0_I0+0+0+0+1], v[vgprValuA_X0_I0+2+0+0:vgprValuA_X0_I0+2+0+0+1], a[16:31]
/*  mfmaIndex:2  */
_ds_load_u16 v[vgprValuB_X1_I0+1], v[vgprLocalReadAddrB] offset:5120 // L -> Reg lro=2048 swapByteOffset=0 ti=128 vIdx=0 rIdx=2 oIdx=0 buffer=1 iui=0
_ds_load_u16_d16_hi v82, v[vgprLocalReadAddrB] offset:5632 // L -> Reg lro=2048 swapByteOffset=0 ti=128 vIdx=0 rIdx=3 oIdx=0 buffer=1 iui=0
_ds_load_u16 v[vgprValuA_X1_I0+2], v[vgprLocalReadAddrA] offset:4098 // L -> Reg lro=2048 swapByteOffset=0 ti=256 vIdx=0 rIdx=0 oIdx=0 buffer=1 iui=0
_ds_load_u16_d16_hi v75, v[vgprLocalReadAddrA] offset:4610 // L -> Reg lro=2048 swapByteOffset=0 ti=256 vIdx=0 rIdx=1 oIdx=0 buffer=1 iui=0
_ds_load_u16 v[vgprValuA_X1_I0+3], v[vgprLocalReadAddrA] offset:5122 // L -> Reg lro=2048 swapByteOffset=0 ti=256 vIdx=0 rIdx=2 oIdx=0 buffer=1 iui=0
_ds_load_u16_d16_hi v76, v[vgprLocalReadAddrA] offset:5634 // L -> Reg lro=2048 swapByteOffset=0 ti=256 vIdx=0 rIdx=3 oIdx=0 buffer=1 iui=0
/* pack scheduling: packAIdx:6, packBIdx:2 */
v_or_b32 v[vgprValuB_X0_I0+2], v[vgprValuB_X0_I0+2], v67 // pack two half Vgpr to one Vgpr
v_or_b32 v[vgprValuB_X0_I0+3], v[vgprValuB_X0_I0+3], v68 // pack two half Vgpr to one Vgpr
	;; [unrolled: 1-line block ×4, first 2 shown]
v_mfma_f32_32x32x8f16 a[32+0:47+0], v[vgprValuB_X0_I0+0+0+0:vgprValuB_X0_I0+0+0+0+1], v[vgprValuA_X0_I0+4+0+0:vgprValuA_X0_I0+4+0+0+1], a[32:47]
/*  mfmaIndex:3  */
_ds_load_u16 v[vgprValuA_X1_I0+4], v[vgprLocalReadAddrA] offset:4100 // L -> Reg lro=2048 swapByteOffset=0 ti=256 vIdx=0 rIdx=0 oIdx=0 buffer=1 iui=0
_ds_load_u16_d16_hi v77, v[vgprLocalReadAddrA] offset:4612 // L -> Reg lro=2048 swapByteOffset=0 ti=256 vIdx=0 rIdx=1 oIdx=0 buffer=1 iui=0
_ds_load_u16 v[vgprValuA_X1_I0+5], v[vgprLocalReadAddrA] offset:5124 // L -> Reg lro=2048 swapByteOffset=0 ti=256 vIdx=0 rIdx=2 oIdx=0 buffer=1 iui=0
_ds_load_u16_d16_hi v78, v[vgprLocalReadAddrA] offset:5636 // L -> Reg lro=2048 swapByteOffset=0 ti=256 vIdx=0 rIdx=3 oIdx=0 buffer=1 iui=0
	;; [unrolled: 2-line block ×3, first 2 shown]
/* pack scheduling: packAIdx:8, packBIdx:2 */
v_or_b32 v[vgprValuB_X0_I0+6], v[vgprValuB_X0_I0+6], v71 // pack two half Vgpr to one Vgpr
v_or_b32 v[vgprValuB_X0_I0+7], v[vgprValuB_X0_I0+7], v72 // pack two half Vgpr to one Vgpr
v_mfma_f32_32x32x8f16 a[48+0:63+0], v[vgprValuB_X0_I0+0+0+0:vgprValuB_X0_I0+0+0+0+1], v[vgprValuA_X0_I0+6+0+0:vgprValuA_X0_I0+6+0+0+1], a[48:63]
/*  mfmaIndex:4  */
_ds_load_u16 v[vgprValuA_X1_I0+7], v[vgprLocalReadAddrA] offset:5126 // L -> Reg lro=2048 swapByteOffset=0 ti=256 vIdx=0 rIdx=2 oIdx=0 buffer=1 iui=0
_ds_load_u16_d16_hi v80, v[vgprLocalReadAddrA] offset:5638 // L -> Reg lro=2048 swapByteOffset=0 ti=256 vIdx=0 rIdx=3 oIdx=0 buffer=1 iui=0
_ds_load_u16 v[vgprValuB_X1_I0+2], v[vgprLocalReadAddrB] offset:4098 // L -> Reg lro=2048 swapByteOffset=0 ti=128 vIdx=0 rIdx=0 oIdx=0 buffer=1 iui=0
_ds_load_u16_d16_hi v83, v[vgprLocalReadAddrB] offset:4610 // L -> Reg lro=2048 swapByteOffset=0 ti=128 vIdx=0 rIdx=1 oIdx=0 buffer=1 iui=0
_ds_load_u16 v[vgprValuB_X1_I0+3], v[vgprLocalReadAddrB] offset:5122 // L -> Reg lro=2048 swapByteOffset=0 ti=128 vIdx=0 rIdx=2 oIdx=0 buffer=1 iui=0
_ds_load_u16_d16_hi v84, v[vgprLocalReadAddrB] offset:5634 // L -> Reg lro=2048 swapByteOffset=0 ti=128 vIdx=0 rIdx=3 oIdx=0 buffer=1 iui=0
v_mfma_f32_32x32x8f16 a[112+0:127+0], v[vgprValuB_X0_I0+2+0+0:vgprValuB_X0_I0+2+0+0+1], v[vgprValuA_X0_I0+6+0+0:vgprValuA_X0_I0+6+0+0+1], a[112:127]
/*  mfmaIndex:5  */
_ds_load_u16 v[vgprValuB_X1_I0+4], v[vgprLocalReadAddrB] offset:4352 // L -> Reg lro=2048 swapByteOffset=0 ti=128 vIdx=1 rIdx=0 oIdx=0 buffer=1 iui=0
_ds_load_u16_d16_hi v85, v[vgprLocalReadAddrB] offset:4864 // L -> Reg lro=2048 swapByteOffset=0 ti=128 vIdx=1 rIdx=1 oIdx=0 buffer=1 iui=0
_ds_load_u16 v[vgprValuB_X1_I0+5], v[vgprLocalReadAddrB] offset:5376 // L -> Reg lro=2048 swapByteOffset=0 ti=128 vIdx=1 rIdx=2 oIdx=0 buffer=1 iui=0
_ds_load_u16_d16_hi v86, v[vgprLocalReadAddrB] offset:5888 // L -> Reg lro=2048 swapByteOffset=0 ti=128 vIdx=1 rIdx=3 oIdx=0 buffer=1 iui=0
_ds_load_u16 v[vgprValuB_X1_I0+6], v[vgprLocalReadAddrB] offset:4354 // L -> Reg lro=2048 swapByteOffset=0 ti=128 vIdx=1 rIdx=0 oIdx=0 buffer=1 iui=0
_ds_load_u16_d16_hi v87, v[vgprLocalReadAddrB] offset:4866 // L -> Reg lro=2048 swapByteOffset=0 ti=128 vIdx=1 rIdx=1 oIdx=0 buffer=1 iui=0
v_mfma_f32_32x32x8f16 a[96+0:111+0], v[vgprValuB_X0_I0+2+0+0:vgprValuB_X0_I0+2+0+0+1], v[vgprValuA_X0_I0+4+0+0:vgprValuA_X0_I0+4+0+0+1], a[96:111]
/*  mfmaIndex:6  */
_ds_load_u16 v[vgprValuB_X1_I0+7], v[vgprLocalReadAddrB] offset:5378 // L -> Reg lro=2048 swapByteOffset=0 ti=128 vIdx=1 rIdx=2 oIdx=0 buffer=1 iui=0
_ds_load_u16_d16_hi v88, v[vgprLocalReadAddrB] offset:5890 // L -> Reg lro=2048 swapByteOffset=0 ti=128 vIdx=1 rIdx=3 oIdx=0 buffer=1 iui=0
/* localReadsVacancy: latencyLeft 9 */
v_mfma_f32_32x32x8f16 a[80+0:95+0], v[vgprValuB_X0_I0+2+0+0:vgprValuB_X0_I0+2+0+0+1], v[vgprValuA_X0_I0+2+0+0:vgprValuA_X0_I0+2+0+0+1], a[80:95]
/*  mfmaIndex:7  */
/* localReadsVacancy: latencyLeft 13 */
v_mfma_f32_32x32x8f16 a[64+0:79+0], v[vgprValuB_X0_I0+2+0+0:vgprValuB_X0_I0+2+0+0+1], v[vgprValuA_X0_I0+0+0+0:vgprValuA_X0_I0+0+0+0+1], a[64:79]
/*  mfmaIndex:8  */
	;; [unrolled: 3-line block ×9, first 2 shown]
/* localReadsVacancy: latencyLeft 13 */
v_mfma_f32_32x32x8f16 a[192+0:207+0], v[vgprValuB_X0_I0+6+0+0:vgprValuB_X0_I0+6+0+0+1], v[vgprValuA_X0_I0+0+0+0:vgprValuA_X0_I0+0+0+0+1], a[192:207]
/* numPrefetchIter=0 */
/* dataAtIterA=-1 numReadsIterA=1 skipReadsIterA=1 readsPerIterA=16 */
/* dataAtIterB=-1 numReadsIterB=1 skipReadsIterB=1 readsPerIterB=16 */


/* iter 1 (last unrolled loop) */

/*  grEndMfmaIndex:0, lwStartMfmaIndex:23, lwEndMfmaIndex:23  */
/*  numMfmaForLR:6, barrierMfmaIndex:25 */
/*  mfmaIndex:16  */
s_waitcnt lgkmcnt(0)                               // lgkmcnt=0 vmcnt=-1wait for prior local read local write old=0, new=0 newLW=0 newLR=0
/* pack scheduling: packAIdx:2, packBIdx:2 */
v_or_b32 v[vgprValuA_X1_I0+0], v[vgprValuA_X1_I0+0], v73 // pack two half Vgpr to one Vgpr
v_or_b32 v[vgprValuA_X1_I0+1], v[vgprValuA_X1_I0+1], v74 // pack two half Vgpr to one Vgpr
v_or_b32 v[vgprValuB_X1_I0+0], v[vgprValuB_X1_I0+0], v81 // pack two half Vgpr to one Vgpr
v_or_b32 v[vgprValuB_X1_I0+1], v[vgprValuB_X1_I0+1], v82 // pack two half Vgpr to one Vgpr
v_or_b32 v[vgprValuA_X1_I0+2], v[vgprValuA_X1_I0+2], v75 // pack two half Vgpr to one Vgpr
v_or_b32 v[vgprValuA_X1_I0+3], v[vgprValuA_X1_I0+3], v76 // pack two half Vgpr to one Vgpr
v_mfma_f32_32x32x8f16 a[0+0:15+0], v[vgprValuB_X1_I0+0+0+0:vgprValuB_X1_I0+0+0+0+1], v[vgprValuA_X1_I0+0+0+0:vgprValuA_X1_I0+0+0+0+1], a[0:15]
/*  mfmaIndex:17  */
/* pack scheduling: packAIdx:4, packBIdx:2 */
v_or_b32 v[vgprValuA_X1_I0+4], v[vgprValuA_X1_I0+4], v77 // pack two half Vgpr to one Vgpr
v_or_b32 v[vgprValuA_X1_I0+5], v[vgprValuA_X1_I0+5], v78 // pack two half Vgpr to one Vgpr
	;; [unrolled: 1-line block ×4, first 2 shown]
v_mfma_f32_32x32x8f16 a[16+0:31+0], v[vgprValuB_X1_I0+0+0+0:vgprValuB_X1_I0+0+0+0+1], v[vgprValuA_X1_I0+2+0+0:vgprValuA_X1_I0+2+0+0+1], a[16:31]
/*  mfmaIndex:18  */
/* pack scheduling: packAIdx:6, packBIdx:2 */
v_or_b32 v[vgprValuB_X1_I0+2], v[vgprValuB_X1_I0+2], v83 // pack two half Vgpr to one Vgpr
v_or_b32 v[vgprValuB_X1_I0+3], v[vgprValuB_X1_I0+3], v84 // pack two half Vgpr to one Vgpr
	;; [unrolled: 1-line block ×4, first 2 shown]
v_mfma_f32_32x32x8f16 a[32+0:47+0], v[vgprValuB_X1_I0+0+0+0:vgprValuB_X1_I0+0+0+0+1], v[vgprValuA_X1_I0+4+0+0:vgprValuA_X1_I0+4+0+0+1], a[32:47]
/*  mfmaIndex:19  */
/* pack scheduling: packAIdx:8, packBIdx:2 */
v_or_b32 v[vgprValuB_X1_I0+6], v[vgprValuB_X1_I0+6], v87 // pack two half Vgpr to one Vgpr
v_or_b32 v[vgprValuB_X1_I0+7], v[vgprValuB_X1_I0+7], v88 // pack two half Vgpr to one Vgpr
v_mfma_f32_32x32x8f16 a[48+0:63+0], v[vgprValuB_X1_I0+0+0+0:vgprValuB_X1_I0+0+0+0+1], v[vgprValuA_X1_I0+6+0+0:vgprValuA_X1_I0+6+0+0+1], a[48:63]
/*  mfmaIndex:20  */
v_mfma_f32_32x32x8f16 a[112+0:127+0], v[vgprValuB_X1_I0+2+0+0:vgprValuB_X1_I0+2+0+0+1], v[vgprValuA_X1_I0+6+0+0:vgprValuA_X1_I0+6+0+0+1], a[112:127]
/*  mfmaIndex:21  */
	;; [unrolled: 2-line block ×12, first 2 shown]
v_mfma_f32_32x32x8f16 a[192+0:207+0], v[vgprValuB_X1_I0+6+0+0:vgprValuB_X1_I0+6+0+0+1], v[vgprValuA_X1_I0+0+0+0:vgprValuA_X1_I0+0+0+0+1], a[192:207]
/* numPrefetchIter=0 */
/* dataAtIterA=0 numReadsIterA=1 skipReadsIterA=0 readsPerIterA=16 */
/* dataAtIterB=0 numReadsIterB=1 skipReadsIterB=0 readsPerIterB=16 */

PrefetchGlobalLastIterEnd_5:


/******************************************/
/* Tail Loop                              */
/******************************************/


/* local write reset offsets a */


v_and_b32 v[vgprLocalWriteAddrA], 0xf03fff, v[vgprLocalWriteAddrA] // reset to Red


/* local write reset offsets b */


v_and_b32 v[vgprLocalWriteAddrB], 0xf03fff, v[vgprLocalWriteAddrB] // reset to Red


//numIterL = (((sizeL % LOCAL_DEPTHU) + LOCAL_SPLITU - 1) / LOCAL_SPLITU)
s_and_b32 s[sgprLoopCounterL], 15, s[sgprSizesSum+0] // s[sgprLoopCounterL] = s[sgprSizesSum+0] % 16
s_cmp_eq_u32 s[sgprLoopCounterL], 0x0              // numIterL == 0
s_cbranch_scc1 SkipTailLoopL_8                     // skip to end of tail loop b/c numIter==0
s_mov_b32 s[sgprOrigLoopCounter], 0                // repurpose to count each localRead increment


/* remove stagger offsets for tail loop */

s_mov_b32 s58, 3                                   // 
s_mul_hi_u32 s57, s58, s[sgprGlobalReadIncsA+0]    // 3 * GlobalReadIncs
s_mul_i32 s56, s58, s[sgprGlobalReadIncsA+0]       // 3 * GlobalReadIncs
s_mul_hi_u32 s59, s[sgprStaggerUIter], s[sgprGlobalReadIncsA+0] // StaggerUIter * GlobalReadIncs
s_mul_i32 s58, s[sgprStaggerUIter], s[sgprGlobalReadIncsA+0] // StaggerUIter * GlobalReadIncs
s_sub_u32 s56, s56, s58                            // start offset S in bytes
s_subb_u32 s57, s57, s59                           // start offset S in bytes
s_sub_u32 s56, s56, s[sgprWrapUA]                  // S - WrapU
s_subb_u32 s57, s57, s[sgprWrapUA+1]               // S - WrapU
s_add_u32 s[sgprSrdA+0], s[sgprSrdA+0], s56        // gra SRD += inc(lower)
s_addc_u32  s[sgprSrdA+1], s[sgprSrdA+1], s57      // gra SRD += inc(upper)
s_sub_u32 s[sgprShadowLimitA+0], s[sgprShadowLimitA+0], s56 // limit -= inc)
s_subb_u32 s[sgprShadowLimitA+1], s[sgprShadowLimitA+1], s57 // limit -= inc)
s_cmp_eq_u32 s[sgprShadowLimitA+1], 0              // are we within 2^32?
s_cselect_b32 s[sgprSrdA+2], s[sgprShadowLimitA+0], BufferLimitA // Move shadow to real if we are within 2^32

s_mov_b32 s58, 3                                   // 
s_mul_hi_u32 s57, s58, s[sgprGlobalReadIncsB+0]    // 3 * GlobalReadIncs
s_mul_i32 s56, s58, s[sgprGlobalReadIncsB+0]       // 3 * GlobalReadIncs
s_mul_hi_u32 s59, s[sgprStaggerUIter], s[sgprGlobalReadIncsB+0] // StaggerUIter * GlobalReadIncs
s_mul_i32 s58, s[sgprStaggerUIter], s[sgprGlobalReadIncsB+0] // StaggerUIter * GlobalReadIncs
s_sub_u32 s56, s56, s58                            // start offset S in bytes
s_subb_u32 s57, s57, s59                           // start offset S in bytes
s_sub_u32 s56, s56, s[sgprWrapUB]                  // S - WrapU
s_subb_u32 s57, s57, s[sgprWrapUB+1]               // S - WrapU
s_add_u32 s[sgprSrdB+0], s[sgprSrdB+0], s56        // gra SRD += inc(lower)
s_addc_u32  s[sgprSrdB+1], s[sgprSrdB+1], s57      // gra SRD += inc(upper)
s_sub_u32 s[sgprShadowLimitB+0], s[sgprShadowLimitB+0], s56 // limit -= inc)
s_subb_u32 s[sgprShadowLimitB+1], s[sgprShadowLimitB+1], s57 // limit -= inc)
s_cmp_eq_u32 s[sgprShadowLimitB+1], 0              // are we within 2^32?
s_cselect_b32 s[sgprSrdB+2], s[sgprShadowLimitB+0], BufferLimitB // Move shadow to real if we are within 2^32


/* Update M0 for DTLDS */



/* global read a */

/* g2l=0, load component 0 */
_buffer_load_b128 v[vgprG2LA+0+0:vgprG2LA+0+0+3], v[vgprGlobalReadOffsetA+0], s[sgprSrdA:sgprSrdA+3], 0, offen offset:0 // load packed 8X buffer value
/* g2l=4, load component 0 */
_buffer_load_b128 v[vgprG2LA+4+0:vgprG2LA+4+0+3], v[vgprGlobalReadOffsetA+1], s[sgprSrdA:sgprSrdA+3], 0, offen offset:0 // load packed 8X buffer value


/* Update M0 for DTLDS */



/* global read b */

/* g2l=0, load component 0 */
_buffer_load_d16_b16 v[vgprG2LB+0+0], v[vgprGlobalReadOffsetB+0], s[sgprSrdB:sgprSrdB+3], 0, offen offset:0 // load one buffer value
/* g2l=0, load component 1 */
_buffer_load_d16_hi_b16 v57, v[vgprGlobalReadOffsetB+0], s[sgprSrdB:sgprSrdB+3], 0, offen offset:2 // load one buffer value
s_waitcnt vmcnt(0)
v_or_b32 v[vgprG2LB+0+0], v[vgprG2LB+0+0], v57 // HasEccHalf: pack
/* g2l=0, load component 2 */
_buffer_load_d16_b16 v[vgprG2LB+0+1], v[vgprGlobalReadOffsetB+0], s[sgprSrdB:sgprSrdB+3], 0, offen offset:4 // load one buffer value
/* g2l=0, load component 3 */
_buffer_load_d16_hi_b16 v57, v[vgprGlobalReadOffsetB+0], s[sgprSrdB:sgprSrdB+3], 0, offen offset:6 // load one buffer value
s_waitcnt vmcnt(0)
v_or_b32 v[vgprG2LB+0+1], v[vgprG2LB+0+1], v57 // HasEccHalf: pack
	;; [unrolled: 6-line block ×8, first 2 shown]

s_waitcnt vmcnt(0)                                 // lgkmcnt=-1 vmcnt=02wait for global read

s_waitcnt lgkmcnt(0) & vmcnt(0)                    // force waitcnt0
s_barrier //


/* Done global A/B reads */




/* local write a */

_ds_store_b128 v[vgprLocalWriteAddrA], v[vgprG2LA+0:vgprG2LA+0+3] offset:0 // lwoA_0_0_0_0 = (0*LSCA) + (0*LSPA)(*MT0I+PAD) = 0
_ds_store_b128 v[vgprLocalWriteAddrA], v[vgprG2LA+4:vgprG2LA+4+3] offset:1024 // lwoA_0_0_1_0 = (0*LSCA) + (1*LSPA)(*MT0I+PAD) = 1024


/* local write b */

_ds_store_b128 v[vgprLocalWriteAddrB], v[vgprG2LB+0:vgprG2LB+0+3] offset:0 // lwoB_0_0_0_0 = (0*LSCB) + (0*LSPB)(*MT1J+PAD) = 0
_ds_store_b128 v[vgprLocalWriteAddrB], v[vgprG2LB+4:vgprG2LB+4+3] offset:1024 // lwoB_0_0_1_0 = (0*LSCB) + (1*LSPB)(*MT1J+PAD) = 1024


/* Recalc local read offsets */


s_waitcnt lgkmcnt(0)                               // lgkmcnt=0 vmcnt=-15wait for local write

s_waitcnt lgkmcnt(0) & vmcnt(0)                    // force waitcnt0
s_barrier //


/* local read reset offsets a */


/* localReadResetOffsets */
/* handled internally */
v_and_b32 v[vgprLocalReadAddrA], 0x3fff, v[vgprLocalReadAddrA] // reset Red,Blk -> Red


/* local read reset offsets b */


/* localReadResetOffsets */
/* handled internally */
v_and_b32 v[vgprLocalReadAddrB], 0x3fff, v[vgprLocalReadAddrB] // reset Red,Blk -> Red


/* local read init pointers a */


/* localReadInitPointers */


/* local read init pointers b */


/* localReadInitPointers */


/* tail loop: macs */

TailLoopBeginL_6:


/* local read a */

_ds_load_u16 v[vgprValuA_X0_I0+0], v[vgprLocalReadAddrA] offset:0 // L -> Reg lro=0 swapByteOffset=0 ti=256 vIdx=0 rIdx=0 oIdx=0 buffer=0 iui=0
_ds_load_u16_d16_hi v57, v[vgprLocalReadAddrA] offset:512 // L -> Reg lro=0 swapByteOffset=0 ti=256 vIdx=0 rIdx=1 oIdx=0 buffer=0 iui=0
_ds_load_u16 v[vgprValuA_X0_I0+1], v[vgprLocalReadAddrA] offset:1024 // L -> Reg lro=0 swapByteOffset=0 ti=256 vIdx=0 rIdx=2 oIdx=0 buffer=0 iui=0
_ds_load_u16_d16_hi v58, v[vgprLocalReadAddrA] offset:1536 // L -> Reg lro=0 swapByteOffset=0 ti=256 vIdx=0 rIdx=3 oIdx=0 buffer=0 iui=0
	;; [unrolled: 2-line block ×8, first 2 shown]


/* local read b */

_ds_load_u16 v[vgprValuB_X0_I0+0], v[vgprLocalReadAddrB] offset:0 // L -> Reg lro=0 swapByteOffset=0 ti=128 vIdx=0 rIdx=0 oIdx=0 buffer=0 iui=0
_ds_load_u16_d16_hi v65, v[vgprLocalReadAddrB] offset:512 // L -> Reg lro=0 swapByteOffset=0 ti=128 vIdx=0 rIdx=1 oIdx=0 buffer=0 iui=0
_ds_load_u16 v[vgprValuB_X0_I0+1], v[vgprLocalReadAddrB] offset:1024 // L -> Reg lro=0 swapByteOffset=0 ti=128 vIdx=0 rIdx=2 oIdx=0 buffer=0 iui=0
_ds_load_u16_d16_hi v66, v[vgprLocalReadAddrB] offset:1536 // L -> Reg lro=0 swapByteOffset=0 ti=128 vIdx=0 rIdx=3 oIdx=0 buffer=0 iui=0
_ds_load_u16 v[vgprValuB_X0_I0+2], v[vgprLocalReadAddrB] offset:2 // L -> Reg lro=0 swapByteOffset=0 ti=128 vIdx=0 rIdx=0 oIdx=0 buffer=0 iui=0
_ds_load_u16_d16_hi v67, v[vgprLocalReadAddrB] offset:514 // L -> Reg lro=0 swapByteOffset=0 ti=128 vIdx=0 rIdx=1 oIdx=0 buffer=0 iui=0
_ds_load_u16 v[vgprValuB_X0_I0+3], v[vgprLocalReadAddrB] offset:1026 // L -> Reg lro=0 swapByteOffset=0 ti=128 vIdx=0 rIdx=2 oIdx=0 buffer=0 iui=0
_ds_load_u16_d16_hi v68, v[vgprLocalReadAddrB] offset:1538 // L -> Reg lro=0 swapByteOffset=0 ti=128 vIdx=0 rIdx=3 oIdx=0 buffer=0 iui=0
_ds_load_u16 v[vgprValuB_X0_I0+4], v[vgprLocalReadAddrB] offset:256 // L -> Reg lro=0 swapByteOffset=0 ti=128 vIdx=1 rIdx=0 oIdx=0 buffer=0 iui=0
_ds_load_u16_d16_hi v69, v[vgprLocalReadAddrB] offset:768 // L -> Reg lro=0 swapByteOffset=0 ti=128 vIdx=1 rIdx=1 oIdx=0 buffer=0 iui=0
_ds_load_u16 v[vgprValuB_X0_I0+5], v[vgprLocalReadAddrB] offset:1280 // L -> Reg lro=0 swapByteOffset=0 ti=128 vIdx=1 rIdx=2 oIdx=0 buffer=0 iui=0
_ds_load_u16_d16_hi v70, v[vgprLocalReadAddrB] offset:1792 // L -> Reg lro=0 swapByteOffset=0 ti=128 vIdx=1 rIdx=3 oIdx=0 buffer=0 iui=0
_ds_load_u16 v[vgprValuB_X0_I0+6], v[vgprLocalReadAddrB] offset:258 // L -> Reg lro=0 swapByteOffset=0 ti=128 vIdx=1 rIdx=0 oIdx=0 buffer=0 iui=0
_ds_load_u16_d16_hi v71, v[vgprLocalReadAddrB] offset:770 // L -> Reg lro=0 swapByteOffset=0 ti=128 vIdx=1 rIdx=1 oIdx=0 buffer=0 iui=0
_ds_load_u16 v[vgprValuB_X0_I0+7], v[vgprLocalReadAddrB] offset:1282 // L -> Reg lro=0 swapByteOffset=0 ti=128 vIdx=1 rIdx=2 oIdx=0 buffer=0 iui=0
_ds_load_u16_d16_hi v72, v[vgprLocalReadAddrB] offset:1794 // L -> Reg lro=0 swapByteOffset=0 ti=128 vIdx=1 rIdx=3 oIdx=0 buffer=0 iui=0


/* local read inc a */

s_mov_b32 s56, 0x1000                              // inc
_v_add_co_u32 v[vgprLocalReadAddrA], vcc, s56, v[vgprLocalReadAddrA] // lrA += 4096 (LSU*(MT+PAD)*bpe)


/* local read inc b */

s_mov_b32 s56, 0x1000                              // inc
_v_add_co_u32 v[vgprLocalReadAddrB], vcc, s56, v[vgprLocalReadAddrB] // lrB += 4096 (LSU*(MT+PAD)*bpe)

s_waitcnt lgkmcnt(0)                               // lgkmcnt=0 vmcnt=-14wait for local read

v_or_b32 v[vgprValuA_X0_I0+0], v[vgprValuA_X0_I0+0], v57 // pack two half Vgpr to one Vgpr
v_or_b32 v[vgprValuA_X0_I0+1], v[vgprValuA_X0_I0+1], v58 // pack two half Vgpr to one Vgpr
	;; [unrolled: 1-line block ×8, first 2 shown]
v_or_b32 v[vgprValuB_X0_I0+0], v[vgprValuB_X0_I0+0], v65 // pack two half Vgpr to one Vgpr
v_or_b32 v[vgprValuB_X0_I0+1], v[vgprValuB_X0_I0+1], v66 // pack two half Vgpr to one Vgpr
	;; [unrolled: 1-line block ×8, first 2 shown]

s_nop 1
v_mfma_f32_32x32x8f16 a[0+0:15+0], v[vgprValuB_X0_I0+0+0+0:vgprValuB_X0_I0+0+0+0+1], v[vgprValuA_X0_I0+0+0+0:vgprValuA_X0_I0+0+0+0+1], a[0:15]
v_mfma_f32_32x32x8f16 a[16+0:31+0], v[vgprValuB_X0_I0+0+0+0:vgprValuB_X0_I0+0+0+0+1], v[vgprValuA_X0_I0+2+0+0:vgprValuA_X0_I0+2+0+0+1], a[16:31]
	;; [unrolled: 1-line block ×16, first 2 shown]


/* closeLoop loopL finalLoop=1 tailLoop=1 */
s_sub_i32 s[sgprLoopCounterL], s[sgprLoopCounterL], 0x8 // dec counterL (tailLoop)
s_add_u32 s[sgprOrigLoopCounter], s[sgprOrigLoopCounter], 0x8 // inc counterL
s_cmp_le_i32 s[sgprLoopCounterL], 0x0              // counterL<=0
s_cbranch_scc0 TailLoopBeginL_6                    // restart LoopL
TailLoopEndL_7:

SkipTailLoopL_8:

Summation_End_28:
/* endSummation: add vgpr [0...54) to pool */
.set NumFullBlocks, UNDEF
.set WgmRemainder1, UNDEF
.set MagicNumberWgmRemainder1, UNDEF

/* Mapping of Acc register -> C Vgpr register */


/* shift vector components d1 */

v_mov_b32 v1, s[sgprWorkGroup1]                    // 
v_mul_i32_i24 v1, -0x100, v1                       // wg*MT
_v_add_co_u32 v1, vcc, s[sgprSizesFree+1], v1      // wgMT = Size - wg*MT
v_mov_b32 v2, 0x100                                // MT
v_min_u32 v1, v2, v1                               // wgMT = (wgMT < MT) ? wgMT : MT
v_lshrrev_b32 v0, 7, v[vgprSerial]                 // v0 = v[vgprSerial] / 128
v_and_b32 v3, 1, v0                                // v3 = v0 % 2
v_lshrrev_b32 v0, 6, v1                            // v0 = v1 / 64
v_and_b32 v4, 1, v0                                // v4 = v0 % 2
v_cmp_eq_u32 s[54:55], v4, v3                      // wave_id == block_belong_to_wave?
v_cndmask_b32 v1, v2, v1, s[54:55]                 // wgMT = (wgMT < MT) ? wgMT : MT

/* mbReg: which mb block need to shift, mb(matrixInstCoal(32) * VectorWidth(2)) */
v_lshrrev_b32 v2, 4, v1                            // v2 = v1 / 16
v_lshlrev_b32 v4, 0x2, v3                          // v4 = v3 * 4
_v_sub_u32 v2, v2, v4                              // 

/* gbReg: glvw block id */
v_lshrrev_b32 v4, 3, v1                            // v4 = v1 / 8

/* tgbReg: glvw block id */
v_lshrrev_b32 v0, 5, v[vgprSerial]                 // v0 = v[vgprSerial] / 32
v_and_b32 v5, 1, v0                                // v5 = v0 % 2
v_lshlrev_b32 v5, 0x3, v5                          // v5 = v5 * 8
v_lshrrev_b32 v5, 3, v5                            // v5 = v5 / 8
v_lshlrev_b32 v3, 0x3, v3                          // v3 = v3 * 8
_v_add_co_u32 v5, vcc, v3, v5                      // tgbReg = (tid_coal * continOut) / GLVW
_v_sub_u32 v4, v4, v5                              // 

/* vwReg: glvw in which vw block? */
v_and_b32 v3, 7, v1                                // permute register between threads
v_lshrrev_b32 v3, 3, v3                            // permute register between threads

/* rReg : reminder of M_size % GlobalLoadVectorWidth */
v_and_b32 v5, 7, v1                                // v5 = v1 % 8
v_cmp_eq_u32 vcc, v5, 0x1                          // wgMT%VW == 1
s_cbranch_vccnz label_0029                         // branch to shift d1 r=1
v_cmp_eq_u32 vcc, v5, 0x2                          // wgMT%VW == 2
s_cbranch_vccnz label_0046                         // branch to shift d1 r=2
v_cmp_eq_u32 vcc, v5, 0x3                          // wgMT%VW == 3
s_cbranch_vccnz label_0063                         // branch to shift d1 r=3
v_cmp_eq_u32 vcc, v5, 0x4                          // wgMT%VW == 4
s_cbranch_vccnz label_0080                         // branch to shift d1 r=4
v_cmp_eq_u32 vcc, v5, 0x5                          // wgMT%VW == 5
s_cbranch_vccnz label_0097                         // branch to shift d1 r=5
v_cmp_eq_u32 vcc, v5, 0x6                          // wgMT%VW == 6
s_cbranch_vccnz label_0114                         // branch to shift d1 r=6
v_cmp_eq_u32 vcc, v5, 0x7                          // wgMT%VW == 7
s_cbranch_vccnz label_0131                         // branch to shift d1 r=7
s_branch label_0148                                // no shifting

/******************************************/
/* shift d1 r=1                           */
/******************************************/
label_0029:
v_cmp_eq_u32 vcc, v2, 0x0                          // 
s_cbranch_vccnz label_0030                         // branch to shift d1 r1 mb0
v_cmp_eq_u32 vcc, v2, 0x1                          // 
s_cbranch_vccnz label_0032                         // branch to shift d1 r1 mb1
v_cmp_eq_u32 vcc, v2, 0x2                          // 
s_cbranch_vccnz label_0034                         // branch to shift d1 r1 mb2
v_cmp_eq_u32 vcc, v2, 0x3                          // 
s_cbranch_vccnz label_0036                         // branch to shift d1 r1 mb3
v_cmp_eq_u32 vcc, v2, 0x8                          // 
s_cbranch_vccnz label_0038                         // branch to shift d1 r1 mb4
v_cmp_eq_u32 vcc, v2, 0x9                          // 
s_cbranch_vccnz label_0040                         // branch to shift d1 r1 mb5
v_cmp_eq_u32 vcc, v2, 0xa                          // 
s_cbranch_vccnz label_0042                         // branch to shift d1 r1 mb6
v_cmp_eq_u32 vcc, v2, 0xb                          // 
s_cbranch_vccnz label_0044                         // branch to shift d1 r1 mb7

/******************************************/
/* shift d1 r=2                           */
/******************************************/
label_0046:
v_cmp_eq_u32 vcc, v2, 0x0                          // 
s_cbranch_vccnz label_0047                         // branch to shift d1 r2 mb0
v_cmp_eq_u32 vcc, v2, 0x1                          // 
s_cbranch_vccnz label_0049                         // branch to shift d1 r2 mb1
v_cmp_eq_u32 vcc, v2, 0x2                          // 
s_cbranch_vccnz label_0051                         // branch to shift d1 r2 mb2
v_cmp_eq_u32 vcc, v2, 0x3                          // 
s_cbranch_vccnz label_0053                         // branch to shift d1 r2 mb3
v_cmp_eq_u32 vcc, v2, 0x8                          // 
s_cbranch_vccnz label_0055                         // branch to shift d1 r2 mb4
v_cmp_eq_u32 vcc, v2, 0x9                          // 
s_cbranch_vccnz label_0057                         // branch to shift d1 r2 mb5
v_cmp_eq_u32 vcc, v2, 0xa                          // 
s_cbranch_vccnz label_0059                         // branch to shift d1 r2 mb6
v_cmp_eq_u32 vcc, v2, 0xb                          // 
s_cbranch_vccnz label_0061                         // branch to shift d1 r2 mb7

/******************************************/
/* shift d1 r=3                           */
/******************************************/
label_0063:
v_cmp_eq_u32 vcc, v2, 0x0                          // 
s_cbranch_vccnz label_0064                         // branch to shift d1 r3 mb0
v_cmp_eq_u32 vcc, v2, 0x1                          // 
s_cbranch_vccnz label_0066                         // branch to shift d1 r3 mb1
v_cmp_eq_u32 vcc, v2, 0x2                          // 
s_cbranch_vccnz label_0068                         // branch to shift d1 r3 mb2
v_cmp_eq_u32 vcc, v2, 0x3                          // 
s_cbranch_vccnz label_0070                         // branch to shift d1 r3 mb3
v_cmp_eq_u32 vcc, v2, 0x8                          // 
s_cbranch_vccnz label_0072                         // branch to shift d1 r3 mb4
v_cmp_eq_u32 vcc, v2, 0x9                          // 
s_cbranch_vccnz label_0074                         // branch to shift d1 r3 mb5
v_cmp_eq_u32 vcc, v2, 0xa                          // 
s_cbranch_vccnz label_0076                         // branch to shift d1 r3 mb6
v_cmp_eq_u32 vcc, v2, 0xb                          // 
s_cbranch_vccnz label_0078                         // branch to shift d1 r3 mb7

/******************************************/
/* shift d1 r=4                           */
/******************************************/
label_0080:
v_cmp_eq_u32 vcc, v2, 0x0                          // 
s_cbranch_vccnz label_0081                         // branch to shift d1 r4 mb0
v_cmp_eq_u32 vcc, v2, 0x1                          // 
s_cbranch_vccnz label_0083                         // branch to shift d1 r4 mb1
v_cmp_eq_u32 vcc, v2, 0x2                          // 
s_cbranch_vccnz label_0085                         // branch to shift d1 r4 mb2
v_cmp_eq_u32 vcc, v2, 0x3                          // 
s_cbranch_vccnz label_0087                         // branch to shift d1 r4 mb3
v_cmp_eq_u32 vcc, v2, 0x8                          // 
s_cbranch_vccnz label_0089                         // branch to shift d1 r4 mb4
v_cmp_eq_u32 vcc, v2, 0x9                          // 
s_cbranch_vccnz label_0091                         // branch to shift d1 r4 mb5
v_cmp_eq_u32 vcc, v2, 0xa                          // 
s_cbranch_vccnz label_0093                         // branch to shift d1 r4 mb6
v_cmp_eq_u32 vcc, v2, 0xb                          // 
s_cbranch_vccnz label_0095                         // branch to shift d1 r4 mb7

/******************************************/
/* shift d1 r=5                           */
/******************************************/
label_0097:
v_cmp_eq_u32 vcc, v2, 0x0                          // 
s_cbranch_vccnz label_0098                         // branch to shift d1 r5 mb0
v_cmp_eq_u32 vcc, v2, 0x1                          // 
s_cbranch_vccnz label_0100                         // branch to shift d1 r5 mb1
v_cmp_eq_u32 vcc, v2, 0x2                          // 
s_cbranch_vccnz label_0102                         // branch to shift d1 r5 mb2
v_cmp_eq_u32 vcc, v2, 0x3                          // 
s_cbranch_vccnz label_0104                         // branch to shift d1 r5 mb3
v_cmp_eq_u32 vcc, v2, 0x8                          // 
s_cbranch_vccnz label_0106                         // branch to shift d1 r5 mb4
v_cmp_eq_u32 vcc, v2, 0x9                          // 
s_cbranch_vccnz label_0108                         // branch to shift d1 r5 mb5
v_cmp_eq_u32 vcc, v2, 0xa                          // 
s_cbranch_vccnz label_0110                         // branch to shift d1 r5 mb6
v_cmp_eq_u32 vcc, v2, 0xb                          // 
s_cbranch_vccnz label_0112                         // branch to shift d1 r5 mb7

/******************************************/
/* shift d1 r=6                           */
/******************************************/
label_0114:
v_cmp_eq_u32 vcc, v2, 0x0                          // 
s_cbranch_vccnz label_0115                         // branch to shift d1 r6 mb0
v_cmp_eq_u32 vcc, v2, 0x1                          // 
s_cbranch_vccnz label_0117                         // branch to shift d1 r6 mb1
v_cmp_eq_u32 vcc, v2, 0x2                          // 
s_cbranch_vccnz label_0119                         // branch to shift d1 r6 mb2
v_cmp_eq_u32 vcc, v2, 0x3                          // 
s_cbranch_vccnz label_0121                         // branch to shift d1 r6 mb3
v_cmp_eq_u32 vcc, v2, 0x8                          // 
s_cbranch_vccnz label_0123                         // branch to shift d1 r6 mb4
v_cmp_eq_u32 vcc, v2, 0x9                          // 
s_cbranch_vccnz label_0125                         // branch to shift d1 r6 mb5
v_cmp_eq_u32 vcc, v2, 0xa                          // 
s_cbranch_vccnz label_0127                         // branch to shift d1 r6 mb6
v_cmp_eq_u32 vcc, v2, 0xb                          // 
s_cbranch_vccnz label_0129                         // branch to shift d1 r6 mb7

/******************************************/
/* shift d1 r=7                           */
/******************************************/
label_0131:
v_cmp_eq_u32 vcc, v2, 0x0                          // 
s_cbranch_vccnz label_0132                         // branch to shift d1 r7 mb0
v_cmp_eq_u32 vcc, v2, 0x1                          // 
s_cbranch_vccnz label_0134                         // branch to shift d1 r7 mb1
v_cmp_eq_u32 vcc, v2, 0x2                          // 
s_cbranch_vccnz label_0136                         // branch to shift d1 r7 mb2
v_cmp_eq_u32 vcc, v2, 0x3                          // 
s_cbranch_vccnz label_0138                         // branch to shift d1 r7 mb3
v_cmp_eq_u32 vcc, v2, 0x8                          // 
s_cbranch_vccnz label_0140                         // branch to shift d1 r7 mb4
v_cmp_eq_u32 vcc, v2, 0x9                          // 
s_cbranch_vccnz label_0142                         // branch to shift d1 r7 mb5
v_cmp_eq_u32 vcc, v2, 0xa                          // 
s_cbranch_vccnz label_0144                         // branch to shift d1 r7 mb6
v_cmp_eq_u32 vcc, v2, 0xb                          // 
s_cbranch_vccnz label_0146                         // branch to shift d1 r7 mb7

/******************************************/
/* shift d1 r=1 mb=0                      */
/******************************************/
label_0030: // r1 mb0 
v_cmp_eq_u32 vcc, v3, 0x0                          // 
s_cbranch_vccnz label_0031                         // branch to shift d1 r1 mb0 vw0

/******************************************/
/* shift d1 r=1 mb=1                      */
/******************************************/
label_0032: // r1 mb1 
v_cmp_eq_u32 vcc, v3, 0x0                          // 
s_cbranch_vccnz label_0033                         // branch to shift d1 r1 mb1 vw0

/******************************************/
/* shift d1 r=1 mb=2                      */
/******************************************/
label_0034: // r1 mb2 
v_cmp_eq_u32 vcc, v3, 0x0                          // 
s_cbranch_vccnz label_0035                         // branch to shift d1 r1 mb2 vw0

/******************************************/
/* shift d1 r=1 mb=3                      */
/******************************************/
label_0036: // r1 mb3 
v_cmp_eq_u32 vcc, v3, 0x0                          // 
s_cbranch_vccnz label_0037                         // branch to shift d1 r1 mb3 vw0

/******************************************/
/* shift d1 r=1 mb=4                      */
/******************************************/
label_0038: // r1 mb4 
v_cmp_eq_u32 vcc, v3, 0x0                          // 
s_cbranch_vccnz label_0039                         // branch to shift d1 r1 mb4 vw0

/******************************************/
/* shift d1 r=1 mb=5                      */
/******************************************/
label_0040: // r1 mb5 
v_cmp_eq_u32 vcc, v3, 0x0                          // 
s_cbranch_vccnz label_0041                         // branch to shift d1 r1 mb5 vw0

/******************************************/
/* shift d1 r=1 mb=6                      */
/******************************************/
label_0042: // r1 mb6 
v_cmp_eq_u32 vcc, v3, 0x0                          // 
s_cbranch_vccnz label_0043                         // branch to shift d1 r1 mb6 vw0

/******************************************/
/* shift d1 r=1 mb=7                      */
/******************************************/
label_0044: // r1 mb7 
v_cmp_eq_u32 vcc, v3, 0x0                          // 
s_cbranch_vccnz label_0045                         // branch to shift d1 r1 mb7 vw0

/******************************************/
/* shift d1 r=2 mb=0                      */
/******************************************/
label_0047: // r2 mb0 
v_cmp_eq_u32 vcc, v3, 0x0                          // 
s_cbranch_vccnz label_0048                         // branch to shift d1 r2 mb0 vw0

/******************************************/
/* shift d1 r=2 mb=1                      */
/******************************************/
label_0049: // r2 mb1 
v_cmp_eq_u32 vcc, v3, 0x0                          // 
s_cbranch_vccnz label_0050                         // branch to shift d1 r2 mb1 vw0

/******************************************/
/* shift d1 r=2 mb=2                      */
/******************************************/
label_0051: // r2 mb2 
v_cmp_eq_u32 vcc, v3, 0x0                          // 
s_cbranch_vccnz label_0052                         // branch to shift d1 r2 mb2 vw0

/******************************************/
/* shift d1 r=2 mb=3                      */
/******************************************/
label_0053: // r2 mb3 
v_cmp_eq_u32 vcc, v3, 0x0                          // 
s_cbranch_vccnz label_0054                         // branch to shift d1 r2 mb3 vw0

/******************************************/
/* shift d1 r=2 mb=4                      */
/******************************************/
label_0055: // r2 mb4 
v_cmp_eq_u32 vcc, v3, 0x0                          // 
s_cbranch_vccnz label_0056                         // branch to shift d1 r2 mb4 vw0

/******************************************/
/* shift d1 r=2 mb=5                      */
/******************************************/
label_0057: // r2 mb5 
v_cmp_eq_u32 vcc, v3, 0x0                          // 
s_cbranch_vccnz label_0058                         // branch to shift d1 r2 mb5 vw0

/******************************************/
/* shift d1 r=2 mb=6                      */
/******************************************/
label_0059: // r2 mb6 
v_cmp_eq_u32 vcc, v3, 0x0                          // 
s_cbranch_vccnz label_0060                         // branch to shift d1 r2 mb6 vw0

/******************************************/
/* shift d1 r=2 mb=7                      */
/******************************************/
label_0061: // r2 mb7 
v_cmp_eq_u32 vcc, v3, 0x0                          // 
s_cbranch_vccnz label_0062                         // branch to shift d1 r2 mb7 vw0

/******************************************/
/* shift d1 r=3 mb=0                      */
/******************************************/
label_0064: // r3 mb0 
v_cmp_eq_u32 vcc, v3, 0x0                          // 
s_cbranch_vccnz label_0065                         // branch to shift d1 r3 mb0 vw0

/******************************************/
/* shift d1 r=3 mb=1                      */
/******************************************/
label_0066: // r3 mb1 
v_cmp_eq_u32 vcc, v3, 0x0                          // 
s_cbranch_vccnz label_0067                         // branch to shift d1 r3 mb1 vw0

/******************************************/
/* shift d1 r=3 mb=2                      */
/******************************************/
label_0068: // r3 mb2 
v_cmp_eq_u32 vcc, v3, 0x0                          // 
s_cbranch_vccnz label_0069                         // branch to shift d1 r3 mb2 vw0

/******************************************/
/* shift d1 r=3 mb=3                      */
/******************************************/
label_0070: // r3 mb3 
v_cmp_eq_u32 vcc, v3, 0x0                          // 
s_cbranch_vccnz label_0071                         // branch to shift d1 r3 mb3 vw0

/******************************************/
/* shift d1 r=3 mb=4                      */
/******************************************/
label_0072: // r3 mb4 
v_cmp_eq_u32 vcc, v3, 0x0                          // 
s_cbranch_vccnz label_0073                         // branch to shift d1 r3 mb4 vw0

/******************************************/
/* shift d1 r=3 mb=5                      */
/******************************************/
label_0074: // r3 mb5 
v_cmp_eq_u32 vcc, v3, 0x0                          // 
s_cbranch_vccnz label_0075                         // branch to shift d1 r3 mb5 vw0

/******************************************/
/* shift d1 r=3 mb=6                      */
/******************************************/
label_0076: // r3 mb6 
v_cmp_eq_u32 vcc, v3, 0x0                          // 
s_cbranch_vccnz label_0077                         // branch to shift d1 r3 mb6 vw0

/******************************************/
/* shift d1 r=3 mb=7                      */
/******************************************/
label_0078: // r3 mb7 
v_cmp_eq_u32 vcc, v3, 0x0                          // 
s_cbranch_vccnz label_0079                         // branch to shift d1 r3 mb7 vw0

/******************************************/
/* shift d1 r=4 mb=0                      */
/******************************************/
label_0081: // r4 mb0 
v_cmp_eq_u32 vcc, v3, 0x0                          // 
s_cbranch_vccnz label_0082                         // branch to shift d1 r4 mb0 vw0

/******************************************/
/* shift d1 r=4 mb=1                      */
/******************************************/
label_0083: // r4 mb1 
v_cmp_eq_u32 vcc, v3, 0x0                          // 
s_cbranch_vccnz label_0084                         // branch to shift d1 r4 mb1 vw0

/******************************************/
/* shift d1 r=4 mb=2                      */
/******************************************/
label_0085: // r4 mb2 
v_cmp_eq_u32 vcc, v3, 0x0                          // 
s_cbranch_vccnz label_0086                         // branch to shift d1 r4 mb2 vw0

/******************************************/
/* shift d1 r=4 mb=3                      */
/******************************************/
label_0087: // r4 mb3 
v_cmp_eq_u32 vcc, v3, 0x0                          // 
s_cbranch_vccnz label_0088                         // branch to shift d1 r4 mb3 vw0

/******************************************/
/* shift d1 r=4 mb=4                      */
/******************************************/
label_0089: // r4 mb4 
v_cmp_eq_u32 vcc, v3, 0x0                          // 
s_cbranch_vccnz label_0090                         // branch to shift d1 r4 mb4 vw0

/******************************************/
/* shift d1 r=4 mb=5                      */
/******************************************/
label_0091: // r4 mb5 
v_cmp_eq_u32 vcc, v3, 0x0                          // 
s_cbranch_vccnz label_0092                         // branch to shift d1 r4 mb5 vw0

/******************************************/
/* shift d1 r=4 mb=6                      */
/******************************************/
label_0093: // r4 mb6 
v_cmp_eq_u32 vcc, v3, 0x0                          // 
s_cbranch_vccnz label_0094                         // branch to shift d1 r4 mb6 vw0

/******************************************/
/* shift d1 r=4 mb=7                      */
/******************************************/
label_0095: // r4 mb7 
v_cmp_eq_u32 vcc, v3, 0x0                          // 
s_cbranch_vccnz label_0096                         // branch to shift d1 r4 mb7 vw0

/******************************************/
/* shift d1 r=5 mb=0                      */
/******************************************/
label_0098: // r5 mb0 
v_cmp_eq_u32 vcc, v3, 0x0                          // 
s_cbranch_vccnz label_0099                         // branch to shift d1 r5 mb0 vw0

/******************************************/
/* shift d1 r=5 mb=1                      */
/******************************************/
label_0100: // r5 mb1 
v_cmp_eq_u32 vcc, v3, 0x0                          // 
s_cbranch_vccnz label_0101                         // branch to shift d1 r5 mb1 vw0

/******************************************/
/* shift d1 r=5 mb=2                      */
/******************************************/
label_0102: // r5 mb2 
v_cmp_eq_u32 vcc, v3, 0x0                          // 
s_cbranch_vccnz label_0103                         // branch to shift d1 r5 mb2 vw0

/******************************************/
/* shift d1 r=5 mb=3                      */
/******************************************/
label_0104: // r5 mb3 
v_cmp_eq_u32 vcc, v3, 0x0                          // 
s_cbranch_vccnz label_0105                         // branch to shift d1 r5 mb3 vw0

/******************************************/
/* shift d1 r=5 mb=4                      */
/******************************************/
label_0106: // r5 mb4 
v_cmp_eq_u32 vcc, v3, 0x0                          // 
s_cbranch_vccnz label_0107                         // branch to shift d1 r5 mb4 vw0

/******************************************/
/* shift d1 r=5 mb=5                      */
/******************************************/
label_0108: // r5 mb5 
v_cmp_eq_u32 vcc, v3, 0x0                          // 
s_cbranch_vccnz label_0109                         // branch to shift d1 r5 mb5 vw0

/******************************************/
/* shift d1 r=5 mb=6                      */
/******************************************/
label_0110: // r5 mb6 
v_cmp_eq_u32 vcc, v3, 0x0                          // 
s_cbranch_vccnz label_0111                         // branch to shift d1 r5 mb6 vw0

/******************************************/
/* shift d1 r=5 mb=7                      */
/******************************************/
label_0112: // r5 mb7 
v_cmp_eq_u32 vcc, v3, 0x0                          // 
s_cbranch_vccnz label_0113                         // branch to shift d1 r5 mb7 vw0

/******************************************/
/* shift d1 r=6 mb=0                      */
/******************************************/
label_0115: // r6 mb0 
v_cmp_eq_u32 vcc, v3, 0x0                          // 
s_cbranch_vccnz label_0116                         // branch to shift d1 r6 mb0 vw0

/******************************************/
/* shift d1 r=6 mb=1                      */
/******************************************/
label_0117: // r6 mb1 
v_cmp_eq_u32 vcc, v3, 0x0                          // 
s_cbranch_vccnz label_0118                         // branch to shift d1 r6 mb1 vw0

/******************************************/
/* shift d1 r=6 mb=2                      */
/******************************************/
label_0119: // r6 mb2 
v_cmp_eq_u32 vcc, v3, 0x0                          // 
s_cbranch_vccnz label_0120                         // branch to shift d1 r6 mb2 vw0

/******************************************/
/* shift d1 r=6 mb=3                      */
/******************************************/
label_0121: // r6 mb3 
v_cmp_eq_u32 vcc, v3, 0x0                          // 
s_cbranch_vccnz label_0122                         // branch to shift d1 r6 mb3 vw0

/******************************************/
/* shift d1 r=6 mb=4                      */
/******************************************/
label_0123: // r6 mb4 
v_cmp_eq_u32 vcc, v3, 0x0                          // 
s_cbranch_vccnz label_0124                         // branch to shift d1 r6 mb4 vw0

/******************************************/
/* shift d1 r=6 mb=5                      */
/******************************************/
label_0125: // r6 mb5 
v_cmp_eq_u32 vcc, v3, 0x0                          // 
s_cbranch_vccnz label_0126                         // branch to shift d1 r6 mb5 vw0

/******************************************/
/* shift d1 r=6 mb=6                      */
/******************************************/
label_0127: // r6 mb6 
v_cmp_eq_u32 vcc, v3, 0x0                          // 
s_cbranch_vccnz label_0128                         // branch to shift d1 r6 mb6 vw0

/******************************************/
/* shift d1 r=6 mb=7                      */
/******************************************/
label_0129: // r6 mb7 
v_cmp_eq_u32 vcc, v3, 0x0                          // 
s_cbranch_vccnz label_0130                         // branch to shift d1 r6 mb7 vw0

/******************************************/
/* shift d1 r=7 mb=0                      */
/******************************************/
label_0132: // r7 mb0 
v_cmp_eq_u32 vcc, v3, 0x0                          // 
s_cbranch_vccnz label_0133                         // branch to shift d1 r7 mb0 vw0

/******************************************/
/* shift d1 r=7 mb=1                      */
/******************************************/
label_0134: // r7 mb1 
v_cmp_eq_u32 vcc, v3, 0x0                          // 
s_cbranch_vccnz label_0135                         // branch to shift d1 r7 mb1 vw0

/******************************************/
/* shift d1 r=7 mb=2                      */
/******************************************/
label_0136: // r7 mb2 
v_cmp_eq_u32 vcc, v3, 0x0                          // 
s_cbranch_vccnz label_0137                         // branch to shift d1 r7 mb2 vw0

/******************************************/
/* shift d1 r=7 mb=3                      */
/******************************************/
label_0138: // r7 mb3 
v_cmp_eq_u32 vcc, v3, 0x0                          // 
s_cbranch_vccnz label_0139                         // branch to shift d1 r7 mb3 vw0

/******************************************/
/* shift d1 r=7 mb=4                      */
/******************************************/
label_0140: // r7 mb4 
v_cmp_eq_u32 vcc, v3, 0x0                          // 
s_cbranch_vccnz label_0141                         // branch to shift d1 r7 mb4 vw0

/******************************************/
/* shift d1 r=7 mb=5                      */
/******************************************/
label_0142: // r7 mb5 
v_cmp_eq_u32 vcc, v3, 0x0                          // 
s_cbranch_vccnz label_0143                         // branch to shift d1 r7 mb5 vw0

/******************************************/
/* shift d1 r=7 mb=6                      */
/******************************************/
label_0144: // r7 mb6 
v_cmp_eq_u32 vcc, v3, 0x0                          // 
s_cbranch_vccnz label_0145                         // branch to shift d1 r7 mb6 vw0

/******************************************/
/* shift d1 r=7 mb=7                      */
/******************************************/
label_0146: // r7 mb7 
v_cmp_eq_u32 vcc, v3, 0x0                          // 
s_cbranch_vccnz label_0147                         // branch to shift d1 r7 mb7 vw0

/******************************************/
/* shift d1 r=1 mb=0 vw0                  */
/******************************************/
label_0031: // r1 mb0 vw0 
s_mov_b32 s54, 0                                   // 
_v_cmpx_eq_u32 s[54:55], v4, s54                   // is thread in edge glvw region
v_and_b32 v0, 63, v[vgprSerial]                    // permute register between threads
v_lshlrev_b32 v0, 2, v0                            // permute register between threads
v_accvgpr_read_b32 v5, acc67                       // glvw 1 mb 0 tt1 0 r 0
s_nop 1                                            // v_accvgpr read vgpr after write vgpr: 2 wait states
v_accvgpr_write_b32 acc0, v5                       // 
v_accvgpr_read_b32 v5, acc83                       // glvw 1 mb 0 tt1 1 r 0
s_nop 1                                            // v_accvgpr read vgpr after write vgpr: 2 wait states
v_accvgpr_write_b32 acc16, v5                      // 
v_accvgpr_read_b32 v5, acc99                       // glvw 1 mb 0 tt1 2 r 0
s_nop 1                                            // v_accvgpr read vgpr after write vgpr: 2 wait states
v_accvgpr_write_b32 acc32, v5                      // 
v_accvgpr_read_b32 v5, acc115                      // glvw 1 mb 0 tt1 3 r 0
s_nop 1                                            // v_accvgpr read vgpr after write vgpr: 2 wait states
v_accvgpr_write_b32 acc48, v5                      // 
s_mov_b64 s[54:55], 0xFFFFFFFFFFFFFFFF             // to restore all threads active
s_or_saveexec_b64 vcc, s[54:55]                    // all threads active
s_branch label_0148                                // done shifting


/******************************************/
/* shift d1 r=1 mb=1 vw0                  */
/******************************************/
label_0033: // r1 mb1 vw0 
s_mov_b32 s54, 2                                   // 
_v_cmpx_eq_u32 s[54:55], v4, s54                   // is thread in edge glvw region
v_and_b32 v0, 63, v[vgprSerial]                    // permute register between threads
v_lshlrev_b32 v0, 2, v0                            // permute register between threads
v_accvgpr_read_b32 v5, acc71                       // glvw 1 mb 1 tt1 0 r 0
s_nop 1                                            // v_accvgpr read vgpr after write vgpr: 2 wait states
v_accvgpr_write_b32 acc4, v5                       // 
v_accvgpr_read_b32 v5, acc87                       // glvw 1 mb 1 tt1 1 r 0
s_nop 1                                            // v_accvgpr read vgpr after write vgpr: 2 wait states
v_accvgpr_write_b32 acc20, v5                      // 
v_accvgpr_read_b32 v5, acc103                      // glvw 1 mb 1 tt1 2 r 0
s_nop 1                                            // v_accvgpr read vgpr after write vgpr: 2 wait states
v_accvgpr_write_b32 acc36, v5                      // 
v_accvgpr_read_b32 v5, acc119                      // glvw 1 mb 1 tt1 3 r 0
s_nop 1                                            // v_accvgpr read vgpr after write vgpr: 2 wait states
v_accvgpr_write_b32 acc52, v5                      // 
s_mov_b64 s[54:55], 0xFFFFFFFFFFFFFFFF             // to restore all threads active
s_or_saveexec_b64 vcc, s[54:55]                    // all threads active
s_branch label_0148                                // done shifting


/******************************************/
/* shift d1 r=1 mb=2 vw0                  */
/******************************************/
label_0035: // r1 mb2 vw0 
s_mov_b32 s54, 4                                   // 
_v_cmpx_eq_u32 s[54:55], v4, s54                   // is thread in edge glvw region
v_and_b32 v0, 63, v[vgprSerial]                    // permute register between threads
v_lshlrev_b32 v0, 2, v0                            // permute register between threads
v_accvgpr_read_b32 v5, acc75                       // glvw 1 mb 2 tt1 0 r 0
s_nop 1                                            // v_accvgpr read vgpr after write vgpr: 2 wait states
v_accvgpr_write_b32 acc8, v5                       // 
v_accvgpr_read_b32 v5, acc91                       // glvw 1 mb 2 tt1 1 r 0
s_nop 1                                            // v_accvgpr read vgpr after write vgpr: 2 wait states
v_accvgpr_write_b32 acc24, v5                      // 
v_accvgpr_read_b32 v5, acc107                      // glvw 1 mb 2 tt1 2 r 0
s_nop 1                                            // v_accvgpr read vgpr after write vgpr: 2 wait states
v_accvgpr_write_b32 acc40, v5                      // 
v_accvgpr_read_b32 v5, acc123                      // glvw 1 mb 2 tt1 3 r 0
s_nop 1                                            // v_accvgpr read vgpr after write vgpr: 2 wait states
v_accvgpr_write_b32 acc56, v5                      // 
s_mov_b64 s[54:55], 0xFFFFFFFFFFFFFFFF             // to restore all threads active
s_or_saveexec_b64 vcc, s[54:55]                    // all threads active
s_branch label_0148                                // done shifting


/******************************************/
/* shift d1 r=1 mb=3 vw0                  */
/******************************************/
label_0037: // r1 mb3 vw0 
s_mov_b32 s54, 6                                   // 
_v_cmpx_eq_u32 s[54:55], v4, s54                   // is thread in edge glvw region
v_and_b32 v0, 63, v[vgprSerial]                    // permute register between threads
v_lshlrev_b32 v0, 2, v0                            // permute register between threads
v_accvgpr_read_b32 v5, acc79                       // glvw 1 mb 3 tt1 0 r 0
s_nop 1                                            // v_accvgpr read vgpr after write vgpr: 2 wait states
v_accvgpr_write_b32 acc12, v5                      // 
v_accvgpr_read_b32 v5, acc95                       // glvw 1 mb 3 tt1 1 r 0
s_nop 1                                            // v_accvgpr read vgpr after write vgpr: 2 wait states
v_accvgpr_write_b32 acc28, v5                      // 
v_accvgpr_read_b32 v5, acc111                      // glvw 1 mb 3 tt1 2 r 0
s_nop 1                                            // v_accvgpr read vgpr after write vgpr: 2 wait states
v_accvgpr_write_b32 acc44, v5                      // 
v_accvgpr_read_b32 v5, acc127                      // glvw 1 mb 3 tt1 3 r 0
s_nop 1                                            // v_accvgpr read vgpr after write vgpr: 2 wait states
v_accvgpr_write_b32 acc60, v5                      // 
s_mov_b64 s[54:55], 0xFFFFFFFFFFFFFFFF             // to restore all threads active
s_or_saveexec_b64 vcc, s[54:55]                    // all threads active
s_branch label_0148                                // done shifting


/******************************************/
/* shift d1 r=1 mb=4 vw0                  */
/******************************************/
label_0039: // r1 mb4 vw0 
s_mov_b32 s54, 16                                  // 
_v_cmpx_eq_u32 s[54:55], v4, s54                   // is thread in edge glvw region
v_and_b32 v0, 63, v[vgprSerial]                    // permute register between threads
v_lshlrev_b32 v0, 2, v0                            // permute register between threads
v_accvgpr_read_b32 v5, acc195                      // glvw 1 mb 4 tt1 0 r 0
s_nop 1                                            // v_accvgpr read vgpr after write vgpr: 2 wait states
v_accvgpr_write_b32 acc128, v5                     // 
v_accvgpr_read_b32 v5, acc211                      // glvw 1 mb 4 tt1 1 r 0
s_nop 1                                            // v_accvgpr read vgpr after write vgpr: 2 wait states
v_accvgpr_write_b32 acc144, v5                     // 
v_accvgpr_read_b32 v5, acc227                      // glvw 1 mb 4 tt1 2 r 0
s_nop 1                                            // v_accvgpr read vgpr after write vgpr: 2 wait states
v_accvgpr_write_b32 acc160, v5                     // 
v_accvgpr_read_b32 v5, acc243                      // glvw 1 mb 4 tt1 3 r 0
s_nop 1                                            // v_accvgpr read vgpr after write vgpr: 2 wait states
v_accvgpr_write_b32 acc176, v5                     // 
s_mov_b64 s[54:55], 0xFFFFFFFFFFFFFFFF             // to restore all threads active
s_or_saveexec_b64 vcc, s[54:55]                    // all threads active
s_branch label_0148                                // done shifting


/******************************************/
/* shift d1 r=1 mb=5 vw0                  */
/******************************************/
label_0041: // r1 mb5 vw0 
s_mov_b32 s54, 18                                  // 
_v_cmpx_eq_u32 s[54:55], v4, s54                   // is thread in edge glvw region
v_and_b32 v0, 63, v[vgprSerial]                    // permute register between threads
v_lshlrev_b32 v0, 2, v0                            // permute register between threads
v_accvgpr_read_b32 v5, acc199                      // glvw 1 mb 5 tt1 0 r 0
s_nop 1                                            // v_accvgpr read vgpr after write vgpr: 2 wait states
v_accvgpr_write_b32 acc132, v5                     // 
v_accvgpr_read_b32 v5, acc215                      // glvw 1 mb 5 tt1 1 r 0
s_nop 1                                            // v_accvgpr read vgpr after write vgpr: 2 wait states
v_accvgpr_write_b32 acc148, v5                     // 
v_accvgpr_read_b32 v5, acc231                      // glvw 1 mb 5 tt1 2 r 0
s_nop 1                                            // v_accvgpr read vgpr after write vgpr: 2 wait states
v_accvgpr_write_b32 acc164, v5                     // 
v_accvgpr_read_b32 v5, acc247                      // glvw 1 mb 5 tt1 3 r 0
s_nop 1                                            // v_accvgpr read vgpr after write vgpr: 2 wait states
v_accvgpr_write_b32 acc180, v5                     // 
s_mov_b64 s[54:55], 0xFFFFFFFFFFFFFFFF             // to restore all threads active
s_or_saveexec_b64 vcc, s[54:55]                    // all threads active
s_branch label_0148                                // done shifting


/******************************************/
/* shift d1 r=1 mb=6 vw0                  */
/******************************************/
label_0043: // r1 mb6 vw0 
s_mov_b32 s54, 20                                  // 
_v_cmpx_eq_u32 s[54:55], v4, s54                   // is thread in edge glvw region
v_and_b32 v0, 63, v[vgprSerial]                    // permute register between threads
v_lshlrev_b32 v0, 2, v0                            // permute register between threads
v_accvgpr_read_b32 v5, acc203                      // glvw 1 mb 6 tt1 0 r 0
s_nop 1                                            // v_accvgpr read vgpr after write vgpr: 2 wait states
v_accvgpr_write_b32 acc136, v5                     // 
v_accvgpr_read_b32 v5, acc219                      // glvw 1 mb 6 tt1 1 r 0
s_nop 1                                            // v_accvgpr read vgpr after write vgpr: 2 wait states
v_accvgpr_write_b32 acc152, v5                     // 
v_accvgpr_read_b32 v5, acc235                      // glvw 1 mb 6 tt1 2 r 0
s_nop 1                                            // v_accvgpr read vgpr after write vgpr: 2 wait states
v_accvgpr_write_b32 acc168, v5                     // 
v_accvgpr_read_b32 v5, acc251                      // glvw 1 mb 6 tt1 3 r 0
s_nop 1                                            // v_accvgpr read vgpr after write vgpr: 2 wait states
v_accvgpr_write_b32 acc184, v5                     // 
s_mov_b64 s[54:55], 0xFFFFFFFFFFFFFFFF             // to restore all threads active
s_or_saveexec_b64 vcc, s[54:55]                    // all threads active
s_branch label_0148                                // done shifting


/******************************************/
/* shift d1 r=1 mb=7 vw0                  */
/******************************************/
label_0045: // r1 mb7 vw0 
s_mov_b32 s54, 22                                  // 
_v_cmpx_eq_u32 s[54:55], v4, s54                   // is thread in edge glvw region
v_and_b32 v0, 63, v[vgprSerial]                    // permute register between threads
v_lshlrev_b32 v0, 2, v0                            // permute register between threads
v_accvgpr_read_b32 v5, acc207                      // glvw 1 mb 7 tt1 0 r 0
s_nop 1                                            // v_accvgpr read vgpr after write vgpr: 2 wait states
v_accvgpr_write_b32 acc140, v5                     // 
v_accvgpr_read_b32 v5, acc223                      // glvw 1 mb 7 tt1 1 r 0
s_nop 1                                            // v_accvgpr read vgpr after write vgpr: 2 wait states
v_accvgpr_write_b32 acc156, v5                     // 
v_accvgpr_read_b32 v5, acc239                      // glvw 1 mb 7 tt1 2 r 0
s_nop 1                                            // v_accvgpr read vgpr after write vgpr: 2 wait states
v_accvgpr_write_b32 acc172, v5                     // 
v_accvgpr_read_b32 v5, acc255                      // glvw 1 mb 7 tt1 3 r 0
s_nop 1                                            // v_accvgpr read vgpr after write vgpr: 2 wait states
v_accvgpr_write_b32 acc188, v5                     // 
s_mov_b64 s[54:55], 0xFFFFFFFFFFFFFFFF             // to restore all threads active
s_or_saveexec_b64 vcc, s[54:55]                    // all threads active
s_branch label_0148                                // done shifting


/******************************************/
/* shift d1 r=2 mb=0 vw0                  */
/******************************************/
label_0048: // r2 mb0 vw0 
s_mov_b32 s54, 0                                   // 
_v_cmpx_eq_u32 s[54:55], v4, s54                   // is thread in edge glvw region
v_and_b32 v0, 63, v[vgprSerial]                    // permute register between threads
v_lshlrev_b32 v0, 2, v0                            // permute register between threads
v_accvgpr_read_b32 v5, acc3                        // glvw 2 mb 0 tt1 0 r 0
v_accvgpr_read_b32 v6, acc67                       // glvw 2 mb 0 tt1 0 r 0
s_nop 1                                            // v_accvgpr read vgpr after write vgpr: 2 wait states
v_accvgpr_write_b32 acc0, v5                       // 
v_accvgpr_write_b32 acc64, v6                      // 
v_accvgpr_read_b32 v5, acc19                       // glvw 2 mb 0 tt1 1 r 0
v_accvgpr_read_b32 v6, acc83                       // glvw 2 mb 0 tt1 1 r 0
s_nop 1                                            // v_accvgpr read vgpr after write vgpr: 2 wait states
v_accvgpr_write_b32 acc16, v5                      // 
v_accvgpr_write_b32 acc80, v6                      // 
v_accvgpr_read_b32 v5, acc35                       // glvw 2 mb 0 tt1 2 r 0
v_accvgpr_read_b32 v6, acc99                       // glvw 2 mb 0 tt1 2 r 0
s_nop 1                                            // v_accvgpr read vgpr after write vgpr: 2 wait states
v_accvgpr_write_b32 acc32, v5                      // 
v_accvgpr_write_b32 acc96, v6                      // 
v_accvgpr_read_b32 v5, acc51                       // glvw 2 mb 0 tt1 3 r 0
v_accvgpr_read_b32 v6, acc115                      // glvw 2 mb 0 tt1 3 r 0
s_nop 1                                            // v_accvgpr read vgpr after write vgpr: 2 wait states
v_accvgpr_write_b32 acc48, v5                      // 
v_accvgpr_write_b32 acc112, v6                     // 
s_mov_b64 s[54:55], 0xFFFFFFFFFFFFFFFF             // to restore all threads active
s_or_saveexec_b64 vcc, s[54:55]                    // all threads active
s_branch label_0148                                // done shifting


/******************************************/
/* shift d1 r=2 mb=1 vw0                  */
/******************************************/
label_0050: // r2 mb1 vw0 
s_mov_b32 s54, 2                                   // 
_v_cmpx_eq_u32 s[54:55], v4, s54                   // is thread in edge glvw region
v_and_b32 v0, 63, v[vgprSerial]                    // permute register between threads
v_lshlrev_b32 v0, 2, v0                            // permute register between threads
v_accvgpr_read_b32 v5, acc7                        // glvw 2 mb 1 tt1 0 r 0
v_accvgpr_read_b32 v6, acc71                       // glvw 2 mb 1 tt1 0 r 0
s_nop 1                                            // v_accvgpr read vgpr after write vgpr: 2 wait states
v_accvgpr_write_b32 acc4, v5                       // 
v_accvgpr_write_b32 acc68, v6                      // 
v_accvgpr_read_b32 v5, acc23                       // glvw 2 mb 1 tt1 1 r 0
v_accvgpr_read_b32 v6, acc87                       // glvw 2 mb 1 tt1 1 r 0
s_nop 1                                            // v_accvgpr read vgpr after write vgpr: 2 wait states
v_accvgpr_write_b32 acc20, v5                      // 
v_accvgpr_write_b32 acc84, v6                      // 
v_accvgpr_read_b32 v5, acc39                       // glvw 2 mb 1 tt1 2 r 0
v_accvgpr_read_b32 v6, acc103                      // glvw 2 mb 1 tt1 2 r 0
s_nop 1                                            // v_accvgpr read vgpr after write vgpr: 2 wait states
v_accvgpr_write_b32 acc36, v5                      // 
v_accvgpr_write_b32 acc100, v6                     // 
v_accvgpr_read_b32 v5, acc55                       // glvw 2 mb 1 tt1 3 r 0
v_accvgpr_read_b32 v6, acc119                      // glvw 2 mb 1 tt1 3 r 0
s_nop 1                                            // v_accvgpr read vgpr after write vgpr: 2 wait states
v_accvgpr_write_b32 acc52, v5                      // 
v_accvgpr_write_b32 acc116, v6                     // 
s_mov_b64 s[54:55], 0xFFFFFFFFFFFFFFFF             // to restore all threads active
s_or_saveexec_b64 vcc, s[54:55]                    // all threads active
s_branch label_0148                                // done shifting


/******************************************/
/* shift d1 r=2 mb=2 vw0                  */
/******************************************/
label_0052: // r2 mb2 vw0 
s_mov_b32 s54, 4                                   // 
_v_cmpx_eq_u32 s[54:55], v4, s54                   // is thread in edge glvw region
v_and_b32 v0, 63, v[vgprSerial]                    // permute register between threads
v_lshlrev_b32 v0, 2, v0                            // permute register between threads
v_accvgpr_read_b32 v5, acc11                       // glvw 2 mb 2 tt1 0 r 0
v_accvgpr_read_b32 v6, acc75                       // glvw 2 mb 2 tt1 0 r 0
s_nop 1                                            // v_accvgpr read vgpr after write vgpr: 2 wait states
v_accvgpr_write_b32 acc8, v5                       // 
v_accvgpr_write_b32 acc72, v6                      // 
v_accvgpr_read_b32 v5, acc27                       // glvw 2 mb 2 tt1 1 r 0
v_accvgpr_read_b32 v6, acc91                       // glvw 2 mb 2 tt1 1 r 0
s_nop 1                                            // v_accvgpr read vgpr after write vgpr: 2 wait states
v_accvgpr_write_b32 acc24, v5                      // 
v_accvgpr_write_b32 acc88, v6                      // 
v_accvgpr_read_b32 v5, acc43                       // glvw 2 mb 2 tt1 2 r 0
v_accvgpr_read_b32 v6, acc107                      // glvw 2 mb 2 tt1 2 r 0
s_nop 1                                            // v_accvgpr read vgpr after write vgpr: 2 wait states
v_accvgpr_write_b32 acc40, v5                      // 
v_accvgpr_write_b32 acc104, v6                     // 
v_accvgpr_read_b32 v5, acc59                       // glvw 2 mb 2 tt1 3 r 0
v_accvgpr_read_b32 v6, acc123                      // glvw 2 mb 2 tt1 3 r 0
s_nop 1                                            // v_accvgpr read vgpr after write vgpr: 2 wait states
v_accvgpr_write_b32 acc56, v5                      // 
v_accvgpr_write_b32 acc120, v6                     // 
s_mov_b64 s[54:55], 0xFFFFFFFFFFFFFFFF             // to restore all threads active
s_or_saveexec_b64 vcc, s[54:55]                    // all threads active
s_branch label_0148                                // done shifting


/******************************************/
/* shift d1 r=2 mb=3 vw0                  */
/******************************************/
label_0054: // r2 mb3 vw0 
s_mov_b32 s54, 6                                   // 
_v_cmpx_eq_u32 s[54:55], v4, s54                   // is thread in edge glvw region
v_and_b32 v0, 63, v[vgprSerial]                    // permute register between threads
v_lshlrev_b32 v0, 2, v0                            // permute register between threads
v_accvgpr_read_b32 v5, acc15                       // glvw 2 mb 3 tt1 0 r 0
v_accvgpr_read_b32 v6, acc79                       // glvw 2 mb 3 tt1 0 r 0
s_nop 1                                            // v_accvgpr read vgpr after write vgpr: 2 wait states
v_accvgpr_write_b32 acc12, v5                      // 
v_accvgpr_write_b32 acc76, v6                      // 
v_accvgpr_read_b32 v5, acc31                       // glvw 2 mb 3 tt1 1 r 0
v_accvgpr_read_b32 v6, acc95                       // glvw 2 mb 3 tt1 1 r 0
s_nop 1                                            // v_accvgpr read vgpr after write vgpr: 2 wait states
v_accvgpr_write_b32 acc28, v5                      // 
v_accvgpr_write_b32 acc92, v6                      // 
v_accvgpr_read_b32 v5, acc47                       // glvw 2 mb 3 tt1 2 r 0
v_accvgpr_read_b32 v6, acc111                      // glvw 2 mb 3 tt1 2 r 0
s_nop 1                                            // v_accvgpr read vgpr after write vgpr: 2 wait states
v_accvgpr_write_b32 acc44, v5                      // 
v_accvgpr_write_b32 acc108, v6                     // 
v_accvgpr_read_b32 v5, acc63                       // glvw 2 mb 3 tt1 3 r 0
v_accvgpr_read_b32 v6, acc127                      // glvw 2 mb 3 tt1 3 r 0
s_nop 1                                            // v_accvgpr read vgpr after write vgpr: 2 wait states
v_accvgpr_write_b32 acc60, v5                      // 
v_accvgpr_write_b32 acc124, v6                     // 
s_mov_b64 s[54:55], 0xFFFFFFFFFFFFFFFF             // to restore all threads active
s_or_saveexec_b64 vcc, s[54:55]                    // all threads active
s_branch label_0148                                // done shifting


/******************************************/
/* shift d1 r=2 mb=4 vw0                  */
/******************************************/
label_0056: // r2 mb4 vw0 
s_mov_b32 s54, 16                                  // 
_v_cmpx_eq_u32 s[54:55], v4, s54                   // is thread in edge glvw region
v_and_b32 v0, 63, v[vgprSerial]                    // permute register between threads
v_lshlrev_b32 v0, 2, v0                            // permute register between threads
v_accvgpr_read_b32 v5, acc131                      // glvw 2 mb 4 tt1 0 r 0
v_accvgpr_read_b32 v6, acc195                      // glvw 2 mb 4 tt1 0 r 0
s_nop 1                                            // v_accvgpr read vgpr after write vgpr: 2 wait states
v_accvgpr_write_b32 acc128, v5                     // 
v_accvgpr_write_b32 acc192, v6                     // 
v_accvgpr_read_b32 v5, acc147                      // glvw 2 mb 4 tt1 1 r 0
v_accvgpr_read_b32 v6, acc211                      // glvw 2 mb 4 tt1 1 r 0
s_nop 1                                            // v_accvgpr read vgpr after write vgpr: 2 wait states
v_accvgpr_write_b32 acc144, v5                     // 
v_accvgpr_write_b32 acc208, v6                     // 
v_accvgpr_read_b32 v5, acc163                      // glvw 2 mb 4 tt1 2 r 0
v_accvgpr_read_b32 v6, acc227                      // glvw 2 mb 4 tt1 2 r 0
s_nop 1                                            // v_accvgpr read vgpr after write vgpr: 2 wait states
v_accvgpr_write_b32 acc160, v5                     // 
v_accvgpr_write_b32 acc224, v6                     // 
v_accvgpr_read_b32 v5, acc179                      // glvw 2 mb 4 tt1 3 r 0
v_accvgpr_read_b32 v6, acc243                      // glvw 2 mb 4 tt1 3 r 0
s_nop 1                                            // v_accvgpr read vgpr after write vgpr: 2 wait states
v_accvgpr_write_b32 acc176, v5                     // 
v_accvgpr_write_b32 acc240, v6                     // 
s_mov_b64 s[54:55], 0xFFFFFFFFFFFFFFFF             // to restore all threads active
s_or_saveexec_b64 vcc, s[54:55]                    // all threads active
s_branch label_0148                                // done shifting


/******************************************/
/* shift d1 r=2 mb=5 vw0                  */
/******************************************/
label_0058: // r2 mb5 vw0 
s_mov_b32 s54, 18                                  // 
_v_cmpx_eq_u32 s[54:55], v4, s54                   // is thread in edge glvw region
v_and_b32 v0, 63, v[vgprSerial]                    // permute register between threads
v_lshlrev_b32 v0, 2, v0                            // permute register between threads
v_accvgpr_read_b32 v5, acc135                      // glvw 2 mb 5 tt1 0 r 0
v_accvgpr_read_b32 v6, acc199                      // glvw 2 mb 5 tt1 0 r 0
s_nop 1                                            // v_accvgpr read vgpr after write vgpr: 2 wait states
v_accvgpr_write_b32 acc132, v5                     // 
v_accvgpr_write_b32 acc196, v6                     // 
v_accvgpr_read_b32 v5, acc151                      // glvw 2 mb 5 tt1 1 r 0
v_accvgpr_read_b32 v6, acc215                      // glvw 2 mb 5 tt1 1 r 0
s_nop 1                                            // v_accvgpr read vgpr after write vgpr: 2 wait states
v_accvgpr_write_b32 acc148, v5                     // 
v_accvgpr_write_b32 acc212, v6                     // 
v_accvgpr_read_b32 v5, acc167                      // glvw 2 mb 5 tt1 2 r 0
v_accvgpr_read_b32 v6, acc231                      // glvw 2 mb 5 tt1 2 r 0
s_nop 1                                            // v_accvgpr read vgpr after write vgpr: 2 wait states
v_accvgpr_write_b32 acc164, v5                     // 
v_accvgpr_write_b32 acc228, v6                     // 
v_accvgpr_read_b32 v5, acc183                      // glvw 2 mb 5 tt1 3 r 0
v_accvgpr_read_b32 v6, acc247                      // glvw 2 mb 5 tt1 3 r 0
s_nop 1                                            // v_accvgpr read vgpr after write vgpr: 2 wait states
v_accvgpr_write_b32 acc180, v5                     // 
v_accvgpr_write_b32 acc244, v6                     // 
s_mov_b64 s[54:55], 0xFFFFFFFFFFFFFFFF             // to restore all threads active
s_or_saveexec_b64 vcc, s[54:55]                    // all threads active
s_branch label_0148                                // done shifting


/******************************************/
/* shift d1 r=2 mb=6 vw0                  */
/******************************************/
label_0060: // r2 mb6 vw0 
s_mov_b32 s54, 20                                  // 
_v_cmpx_eq_u32 s[54:55], v4, s54                   // is thread in edge glvw region
v_and_b32 v0, 63, v[vgprSerial]                    // permute register between threads
v_lshlrev_b32 v0, 2, v0                            // permute register between threads
v_accvgpr_read_b32 v5, acc139                      // glvw 2 mb 6 tt1 0 r 0
v_accvgpr_read_b32 v6, acc203                      // glvw 2 mb 6 tt1 0 r 0
s_nop 1                                            // v_accvgpr read vgpr after write vgpr: 2 wait states
v_accvgpr_write_b32 acc136, v5                     // 
v_accvgpr_write_b32 acc200, v6                     // 
v_accvgpr_read_b32 v5, acc155                      // glvw 2 mb 6 tt1 1 r 0
v_accvgpr_read_b32 v6, acc219                      // glvw 2 mb 6 tt1 1 r 0
s_nop 1                                            // v_accvgpr read vgpr after write vgpr: 2 wait states
v_accvgpr_write_b32 acc152, v5                     // 
v_accvgpr_write_b32 acc216, v6                     // 
v_accvgpr_read_b32 v5, acc171                      // glvw 2 mb 6 tt1 2 r 0
v_accvgpr_read_b32 v6, acc235                      // glvw 2 mb 6 tt1 2 r 0
s_nop 1                                            // v_accvgpr read vgpr after write vgpr: 2 wait states
v_accvgpr_write_b32 acc168, v5                     // 
v_accvgpr_write_b32 acc232, v6                     // 
v_accvgpr_read_b32 v5, acc187                      // glvw 2 mb 6 tt1 3 r 0
v_accvgpr_read_b32 v6, acc251                      // glvw 2 mb 6 tt1 3 r 0
s_nop 1                                            // v_accvgpr read vgpr after write vgpr: 2 wait states
v_accvgpr_write_b32 acc184, v5                     // 
v_accvgpr_write_b32 acc248, v6                     // 
s_mov_b64 s[54:55], 0xFFFFFFFFFFFFFFFF             // to restore all threads active
s_or_saveexec_b64 vcc, s[54:55]                    // all threads active
s_branch label_0148                                // done shifting


/******************************************/
/* shift d1 r=2 mb=7 vw0                  */
/******************************************/
label_0062: // r2 mb7 vw0 
s_mov_b32 s54, 22                                  // 
_v_cmpx_eq_u32 s[54:55], v4, s54                   // is thread in edge glvw region
v_and_b32 v0, 63, v[vgprSerial]                    // permute register between threads
v_lshlrev_b32 v0, 2, v0                            // permute register between threads
v_accvgpr_read_b32 v5, acc143                      // glvw 2 mb 7 tt1 0 r 0
v_accvgpr_read_b32 v6, acc207                      // glvw 2 mb 7 tt1 0 r 0
s_nop 1                                            // v_accvgpr read vgpr after write vgpr: 2 wait states
v_accvgpr_write_b32 acc140, v5                     // 
v_accvgpr_write_b32 acc204, v6                     // 
v_accvgpr_read_b32 v5, acc159                      // glvw 2 mb 7 tt1 1 r 0
v_accvgpr_read_b32 v6, acc223                      // glvw 2 mb 7 tt1 1 r 0
s_nop 1                                            // v_accvgpr read vgpr after write vgpr: 2 wait states
v_accvgpr_write_b32 acc156, v5                     // 
v_accvgpr_write_b32 acc220, v6                     // 
v_accvgpr_read_b32 v5, acc175                      // glvw 2 mb 7 tt1 2 r 0
v_accvgpr_read_b32 v6, acc239                      // glvw 2 mb 7 tt1 2 r 0
s_nop 1                                            // v_accvgpr read vgpr after write vgpr: 2 wait states
v_accvgpr_write_b32 acc172, v5                     // 
v_accvgpr_write_b32 acc236, v6                     // 
v_accvgpr_read_b32 v5, acc191                      // glvw 2 mb 7 tt1 3 r 0
v_accvgpr_read_b32 v6, acc255                      // glvw 2 mb 7 tt1 3 r 0
s_nop 1                                            // v_accvgpr read vgpr after write vgpr: 2 wait states
v_accvgpr_write_b32 acc188, v5                     // 
v_accvgpr_write_b32 acc252, v6                     // 
s_mov_b64 s[54:55], 0xFFFFFFFFFFFFFFFF             // to restore all threads active
s_or_saveexec_b64 vcc, s[54:55]                    // all threads active
s_branch label_0148                                // done shifting


/******************************************/
/* shift d1 r=3 mb=0 vw0                  */
/******************************************/
label_0065: // r3 mb0 vw0 
s_mov_b32 s54, 0                                   // 
_v_cmpx_eq_u32 s[54:55], v4, s54                   // is thread in edge glvw region
v_and_b32 v0, 63, v[vgprSerial]                    // permute register between threads
v_lshlrev_b32 v0, 2, v0                            // permute register between threads
v_accvgpr_read_b32 v5, acc66                       // glvw 3 mb 0 tt1 0 r 0
v_accvgpr_read_b32 v6, acc3                        // glvw 3 mb 0 tt1 0 r 0
v_accvgpr_read_b32 v7, acc67                       // glvw 3 mb 0 tt1 0 r 0
s_nop 1                                            // v_accvgpr read vgpr after write vgpr: 2 wait states
v_accvgpr_write_b32 acc0, v5                       // 
v_accvgpr_write_b32 acc64, v6                      // 
v_accvgpr_write_b32 acc1, v7                       // 
v_accvgpr_read_b32 v5, acc82                       // glvw 3 mb 0 tt1 1 r 0
v_accvgpr_read_b32 v6, acc19                       // glvw 3 mb 0 tt1 1 r 0
v_accvgpr_read_b32 v7, acc83                       // glvw 3 mb 0 tt1 1 r 0
s_nop 1                                            // v_accvgpr read vgpr after write vgpr: 2 wait states
v_accvgpr_write_b32 acc16, v5                      // 
v_accvgpr_write_b32 acc80, v6                      // 
v_accvgpr_write_b32 acc17, v7                      // 
v_accvgpr_read_b32 v5, acc98                       // glvw 3 mb 0 tt1 2 r 0
v_accvgpr_read_b32 v6, acc35                       // glvw 3 mb 0 tt1 2 r 0
v_accvgpr_read_b32 v7, acc99                       // glvw 3 mb 0 tt1 2 r 0
s_nop 1                                            // v_accvgpr read vgpr after write vgpr: 2 wait states
v_accvgpr_write_b32 acc32, v5                      // 
v_accvgpr_write_b32 acc96, v6                      // 
v_accvgpr_write_b32 acc33, v7                      // 
v_accvgpr_read_b32 v5, acc114                      // glvw 3 mb 0 tt1 3 r 0
v_accvgpr_read_b32 v6, acc51                       // glvw 3 mb 0 tt1 3 r 0
v_accvgpr_read_b32 v7, acc115                      // glvw 3 mb 0 tt1 3 r 0
s_nop 1                                            // v_accvgpr read vgpr after write vgpr: 2 wait states
v_accvgpr_write_b32 acc48, v5                      // 
v_accvgpr_write_b32 acc112, v6                     // 
v_accvgpr_write_b32 acc49, v7                      // 
s_mov_b64 s[54:55], 0xFFFFFFFFFFFFFFFF             // to restore all threads active
s_or_saveexec_b64 vcc, s[54:55]                    // all threads active
s_branch label_0148                                // done shifting


/******************************************/
/* shift d1 r=3 mb=1 vw0                  */
/******************************************/
label_0067: // r3 mb1 vw0 
s_mov_b32 s54, 2                                   // 
_v_cmpx_eq_u32 s[54:55], v4, s54                   // is thread in edge glvw region
v_and_b32 v0, 63, v[vgprSerial]                    // permute register between threads
v_lshlrev_b32 v0, 2, v0                            // permute register between threads
v_accvgpr_read_b32 v5, acc70                       // glvw 3 mb 1 tt1 0 r 0
v_accvgpr_read_b32 v6, acc7                        // glvw 3 mb 1 tt1 0 r 0
v_accvgpr_read_b32 v7, acc71                       // glvw 3 mb 1 tt1 0 r 0
s_nop 1                                            // v_accvgpr read vgpr after write vgpr: 2 wait states
v_accvgpr_write_b32 acc4, v5                       // 
v_accvgpr_write_b32 acc68, v6                      // 
v_accvgpr_write_b32 acc5, v7                       // 
v_accvgpr_read_b32 v5, acc86                       // glvw 3 mb 1 tt1 1 r 0
v_accvgpr_read_b32 v6, acc23                       // glvw 3 mb 1 tt1 1 r 0
v_accvgpr_read_b32 v7, acc87                       // glvw 3 mb 1 tt1 1 r 0
s_nop 1                                            // v_accvgpr read vgpr after write vgpr: 2 wait states
v_accvgpr_write_b32 acc20, v5                      // 
v_accvgpr_write_b32 acc84, v6                      // 
v_accvgpr_write_b32 acc21, v7                      // 
v_accvgpr_read_b32 v5, acc102                      // glvw 3 mb 1 tt1 2 r 0
v_accvgpr_read_b32 v6, acc39                       // glvw 3 mb 1 tt1 2 r 0
v_accvgpr_read_b32 v7, acc103                      // glvw 3 mb 1 tt1 2 r 0
s_nop 1                                            // v_accvgpr read vgpr after write vgpr: 2 wait states
v_accvgpr_write_b32 acc36, v5                      // 
v_accvgpr_write_b32 acc100, v6                     // 
v_accvgpr_write_b32 acc37, v7                      // 
v_accvgpr_read_b32 v5, acc118                      // glvw 3 mb 1 tt1 3 r 0
v_accvgpr_read_b32 v6, acc55                       // glvw 3 mb 1 tt1 3 r 0
v_accvgpr_read_b32 v7, acc119                      // glvw 3 mb 1 tt1 3 r 0
s_nop 1                                            // v_accvgpr read vgpr after write vgpr: 2 wait states
v_accvgpr_write_b32 acc52, v5                      // 
v_accvgpr_write_b32 acc116, v6                     // 
v_accvgpr_write_b32 acc53, v7                      // 
s_mov_b64 s[54:55], 0xFFFFFFFFFFFFFFFF             // to restore all threads active
s_or_saveexec_b64 vcc, s[54:55]                    // all threads active
s_branch label_0148                                // done shifting


/******************************************/
/* shift d1 r=3 mb=2 vw0                  */
/******************************************/
label_0069: // r3 mb2 vw0 
s_mov_b32 s54, 4                                   // 
_v_cmpx_eq_u32 s[54:55], v4, s54                   // is thread in edge glvw region
v_and_b32 v0, 63, v[vgprSerial]                    // permute register between threads
v_lshlrev_b32 v0, 2, v0                            // permute register between threads
v_accvgpr_read_b32 v5, acc74                       // glvw 3 mb 2 tt1 0 r 0
v_accvgpr_read_b32 v6, acc11                       // glvw 3 mb 2 tt1 0 r 0
v_accvgpr_read_b32 v7, acc75                       // glvw 3 mb 2 tt1 0 r 0
s_nop 1                                            // v_accvgpr read vgpr after write vgpr: 2 wait states
v_accvgpr_write_b32 acc8, v5                       // 
v_accvgpr_write_b32 acc72, v6                      // 
v_accvgpr_write_b32 acc9, v7                       // 
v_accvgpr_read_b32 v5, acc90                       // glvw 3 mb 2 tt1 1 r 0
v_accvgpr_read_b32 v6, acc27                       // glvw 3 mb 2 tt1 1 r 0
v_accvgpr_read_b32 v7, acc91                       // glvw 3 mb 2 tt1 1 r 0
s_nop 1                                            // v_accvgpr read vgpr after write vgpr: 2 wait states
v_accvgpr_write_b32 acc24, v5                      // 
v_accvgpr_write_b32 acc88, v6                      // 
v_accvgpr_write_b32 acc25, v7                      // 
v_accvgpr_read_b32 v5, acc106                      // glvw 3 mb 2 tt1 2 r 0
v_accvgpr_read_b32 v6, acc43                       // glvw 3 mb 2 tt1 2 r 0
v_accvgpr_read_b32 v7, acc107                      // glvw 3 mb 2 tt1 2 r 0
s_nop 1                                            // v_accvgpr read vgpr after write vgpr: 2 wait states
v_accvgpr_write_b32 acc40, v5                      // 
v_accvgpr_write_b32 acc104, v6                     // 
v_accvgpr_write_b32 acc41, v7                      // 
v_accvgpr_read_b32 v5, acc122                      // glvw 3 mb 2 tt1 3 r 0
v_accvgpr_read_b32 v6, acc59                       // glvw 3 mb 2 tt1 3 r 0
v_accvgpr_read_b32 v7, acc123                      // glvw 3 mb 2 tt1 3 r 0
s_nop 1                                            // v_accvgpr read vgpr after write vgpr: 2 wait states
v_accvgpr_write_b32 acc56, v5                      // 
v_accvgpr_write_b32 acc120, v6                     // 
v_accvgpr_write_b32 acc57, v7                      // 
s_mov_b64 s[54:55], 0xFFFFFFFFFFFFFFFF             // to restore all threads active
s_or_saveexec_b64 vcc, s[54:55]                    // all threads active
s_branch label_0148                                // done shifting


/******************************************/
/* shift d1 r=3 mb=3 vw0                  */
/******************************************/
label_0071: // r3 mb3 vw0 
s_mov_b32 s54, 6                                   // 
_v_cmpx_eq_u32 s[54:55], v4, s54                   // is thread in edge glvw region
v_and_b32 v0, 63, v[vgprSerial]                    // permute register between threads
v_lshlrev_b32 v0, 2, v0                            // permute register between threads
v_accvgpr_read_b32 v5, acc78                       // glvw 3 mb 3 tt1 0 r 0
v_accvgpr_read_b32 v6, acc15                       // glvw 3 mb 3 tt1 0 r 0
v_accvgpr_read_b32 v7, acc79                       // glvw 3 mb 3 tt1 0 r 0
s_nop 1                                            // v_accvgpr read vgpr after write vgpr: 2 wait states
v_accvgpr_write_b32 acc12, v5                      // 
v_accvgpr_write_b32 acc76, v6                      // 
v_accvgpr_write_b32 acc13, v7                      // 
v_accvgpr_read_b32 v5, acc94                       // glvw 3 mb 3 tt1 1 r 0
v_accvgpr_read_b32 v6, acc31                       // glvw 3 mb 3 tt1 1 r 0
v_accvgpr_read_b32 v7, acc95                       // glvw 3 mb 3 tt1 1 r 0
s_nop 1                                            // v_accvgpr read vgpr after write vgpr: 2 wait states
v_accvgpr_write_b32 acc28, v5                      // 
v_accvgpr_write_b32 acc92, v6                      // 
v_accvgpr_write_b32 acc29, v7                      // 
v_accvgpr_read_b32 v5, acc110                      // glvw 3 mb 3 tt1 2 r 0
v_accvgpr_read_b32 v6, acc47                       // glvw 3 mb 3 tt1 2 r 0
v_accvgpr_read_b32 v7, acc111                      // glvw 3 mb 3 tt1 2 r 0
s_nop 1                                            // v_accvgpr read vgpr after write vgpr: 2 wait states
v_accvgpr_write_b32 acc44, v5                      // 
v_accvgpr_write_b32 acc108, v6                     // 
v_accvgpr_write_b32 acc45, v7                      // 
v_accvgpr_read_b32 v5, acc126                      // glvw 3 mb 3 tt1 3 r 0
v_accvgpr_read_b32 v6, acc63                       // glvw 3 mb 3 tt1 3 r 0
v_accvgpr_read_b32 v7, acc127                      // glvw 3 mb 3 tt1 3 r 0
s_nop 1                                            // v_accvgpr read vgpr after write vgpr: 2 wait states
v_accvgpr_write_b32 acc60, v5                      // 
v_accvgpr_write_b32 acc124, v6                     // 
v_accvgpr_write_b32 acc61, v7                      // 
s_mov_b64 s[54:55], 0xFFFFFFFFFFFFFFFF             // to restore all threads active
s_or_saveexec_b64 vcc, s[54:55]                    // all threads active
s_branch label_0148                                // done shifting


/******************************************/
/* shift d1 r=3 mb=4 vw0                  */
/******************************************/
label_0073: // r3 mb4 vw0 
s_mov_b32 s54, 16                                  // 
_v_cmpx_eq_u32 s[54:55], v4, s54                   // is thread in edge glvw region
v_and_b32 v0, 63, v[vgprSerial]                    // permute register between threads
v_lshlrev_b32 v0, 2, v0                            // permute register between threads
v_accvgpr_read_b32 v5, acc194                      // glvw 3 mb 4 tt1 0 r 0
v_accvgpr_read_b32 v6, acc131                      // glvw 3 mb 4 tt1 0 r 0
v_accvgpr_read_b32 v7, acc195                      // glvw 3 mb 4 tt1 0 r 0
s_nop 1                                            // v_accvgpr read vgpr after write vgpr: 2 wait states
v_accvgpr_write_b32 acc128, v5                     // 
v_accvgpr_write_b32 acc192, v6                     // 
v_accvgpr_write_b32 acc129, v7                     // 
v_accvgpr_read_b32 v5, acc210                      // glvw 3 mb 4 tt1 1 r 0
v_accvgpr_read_b32 v6, acc147                      // glvw 3 mb 4 tt1 1 r 0
v_accvgpr_read_b32 v7, acc211                      // glvw 3 mb 4 tt1 1 r 0
s_nop 1                                            // v_accvgpr read vgpr after write vgpr: 2 wait states
v_accvgpr_write_b32 acc144, v5                     // 
v_accvgpr_write_b32 acc208, v6                     // 
v_accvgpr_write_b32 acc145, v7                     // 
v_accvgpr_read_b32 v5, acc226                      // glvw 3 mb 4 tt1 2 r 0
v_accvgpr_read_b32 v6, acc163                      // glvw 3 mb 4 tt1 2 r 0
v_accvgpr_read_b32 v7, acc227                      // glvw 3 mb 4 tt1 2 r 0
s_nop 1                                            // v_accvgpr read vgpr after write vgpr: 2 wait states
v_accvgpr_write_b32 acc160, v5                     // 
v_accvgpr_write_b32 acc224, v6                     // 
v_accvgpr_write_b32 acc161, v7                     // 
v_accvgpr_read_b32 v5, acc242                      // glvw 3 mb 4 tt1 3 r 0
v_accvgpr_read_b32 v6, acc179                      // glvw 3 mb 4 tt1 3 r 0
v_accvgpr_read_b32 v7, acc243                      // glvw 3 mb 4 tt1 3 r 0
s_nop 1                                            // v_accvgpr read vgpr after write vgpr: 2 wait states
v_accvgpr_write_b32 acc176, v5                     // 
v_accvgpr_write_b32 acc240, v6                     // 
v_accvgpr_write_b32 acc177, v7                     // 
s_mov_b64 s[54:55], 0xFFFFFFFFFFFFFFFF             // to restore all threads active
s_or_saveexec_b64 vcc, s[54:55]                    // all threads active
s_branch label_0148                                // done shifting


/******************************************/
/* shift d1 r=3 mb=5 vw0                  */
/******************************************/
label_0075: // r3 mb5 vw0 
s_mov_b32 s54, 18                                  // 
_v_cmpx_eq_u32 s[54:55], v4, s54                   // is thread in edge glvw region
v_and_b32 v0, 63, v[vgprSerial]                    // permute register between threads
v_lshlrev_b32 v0, 2, v0                            // permute register between threads
v_accvgpr_read_b32 v5, acc198                      // glvw 3 mb 5 tt1 0 r 0
v_accvgpr_read_b32 v6, acc135                      // glvw 3 mb 5 tt1 0 r 0
v_accvgpr_read_b32 v7, acc199                      // glvw 3 mb 5 tt1 0 r 0
s_nop 1                                            // v_accvgpr read vgpr after write vgpr: 2 wait states
v_accvgpr_write_b32 acc132, v5                     // 
v_accvgpr_write_b32 acc196, v6                     // 
v_accvgpr_write_b32 acc133, v7                     // 
v_accvgpr_read_b32 v5, acc214                      // glvw 3 mb 5 tt1 1 r 0
v_accvgpr_read_b32 v6, acc151                      // glvw 3 mb 5 tt1 1 r 0
v_accvgpr_read_b32 v7, acc215                      // glvw 3 mb 5 tt1 1 r 0
s_nop 1                                            // v_accvgpr read vgpr after write vgpr: 2 wait states
v_accvgpr_write_b32 acc148, v5                     // 
v_accvgpr_write_b32 acc212, v6                     // 
v_accvgpr_write_b32 acc149, v7                     // 
v_accvgpr_read_b32 v5, acc230                      // glvw 3 mb 5 tt1 2 r 0
v_accvgpr_read_b32 v6, acc167                      // glvw 3 mb 5 tt1 2 r 0
v_accvgpr_read_b32 v7, acc231                      // glvw 3 mb 5 tt1 2 r 0
s_nop 1                                            // v_accvgpr read vgpr after write vgpr: 2 wait states
v_accvgpr_write_b32 acc164, v5                     // 
v_accvgpr_write_b32 acc228, v6                     // 
v_accvgpr_write_b32 acc165, v7                     // 
v_accvgpr_read_b32 v5, acc246                      // glvw 3 mb 5 tt1 3 r 0
v_accvgpr_read_b32 v6, acc183                      // glvw 3 mb 5 tt1 3 r 0
v_accvgpr_read_b32 v7, acc247                      // glvw 3 mb 5 tt1 3 r 0
s_nop 1                                            // v_accvgpr read vgpr after write vgpr: 2 wait states
v_accvgpr_write_b32 acc180, v5                     // 
v_accvgpr_write_b32 acc244, v6                     // 
v_accvgpr_write_b32 acc181, v7                     // 
s_mov_b64 s[54:55], 0xFFFFFFFFFFFFFFFF             // to restore all threads active
s_or_saveexec_b64 vcc, s[54:55]                    // all threads active
s_branch label_0148                                // done shifting


/******************************************/
/* shift d1 r=3 mb=6 vw0                  */
/******************************************/
label_0077: // r3 mb6 vw0 
s_mov_b32 s54, 20                                  // 
_v_cmpx_eq_u32 s[54:55], v4, s54                   // is thread in edge glvw region
v_and_b32 v0, 63, v[vgprSerial]                    // permute register between threads
v_lshlrev_b32 v0, 2, v0                            // permute register between threads
v_accvgpr_read_b32 v5, acc202                      // glvw 3 mb 6 tt1 0 r 0
v_accvgpr_read_b32 v6, acc139                      // glvw 3 mb 6 tt1 0 r 0
v_accvgpr_read_b32 v7, acc203                      // glvw 3 mb 6 tt1 0 r 0
s_nop 1                                            // v_accvgpr read vgpr after write vgpr: 2 wait states
v_accvgpr_write_b32 acc136, v5                     // 
v_accvgpr_write_b32 acc200, v6                     // 
v_accvgpr_write_b32 acc137, v7                     // 
v_accvgpr_read_b32 v5, acc218                      // glvw 3 mb 6 tt1 1 r 0
v_accvgpr_read_b32 v6, acc155                      // glvw 3 mb 6 tt1 1 r 0
v_accvgpr_read_b32 v7, acc219                      // glvw 3 mb 6 tt1 1 r 0
s_nop 1                                            // v_accvgpr read vgpr after write vgpr: 2 wait states
v_accvgpr_write_b32 acc152, v5                     // 
v_accvgpr_write_b32 acc216, v6                     // 
v_accvgpr_write_b32 acc153, v7                     // 
v_accvgpr_read_b32 v5, acc234                      // glvw 3 mb 6 tt1 2 r 0
v_accvgpr_read_b32 v6, acc171                      // glvw 3 mb 6 tt1 2 r 0
v_accvgpr_read_b32 v7, acc235                      // glvw 3 mb 6 tt1 2 r 0
s_nop 1                                            // v_accvgpr read vgpr after write vgpr: 2 wait states
v_accvgpr_write_b32 acc168, v5                     // 
v_accvgpr_write_b32 acc232, v6                     // 
v_accvgpr_write_b32 acc169, v7                     // 
v_accvgpr_read_b32 v5, acc250                      // glvw 3 mb 6 tt1 3 r 0
v_accvgpr_read_b32 v6, acc187                      // glvw 3 mb 6 tt1 3 r 0
v_accvgpr_read_b32 v7, acc251                      // glvw 3 mb 6 tt1 3 r 0
s_nop 1                                            // v_accvgpr read vgpr after write vgpr: 2 wait states
v_accvgpr_write_b32 acc184, v5                     // 
v_accvgpr_write_b32 acc248, v6                     // 
v_accvgpr_write_b32 acc185, v7                     // 
s_mov_b64 s[54:55], 0xFFFFFFFFFFFFFFFF             // to restore all threads active
s_or_saveexec_b64 vcc, s[54:55]                    // all threads active
s_branch label_0148                                // done shifting


/******************************************/
/* shift d1 r=3 mb=7 vw0                  */
/******************************************/
label_0079: // r3 mb7 vw0 
s_mov_b32 s54, 22                                  // 
_v_cmpx_eq_u32 s[54:55], v4, s54                   // is thread in edge glvw region
v_and_b32 v0, 63, v[vgprSerial]                    // permute register between threads
v_lshlrev_b32 v0, 2, v0                            // permute register between threads
v_accvgpr_read_b32 v5, acc206                      // glvw 3 mb 7 tt1 0 r 0
v_accvgpr_read_b32 v6, acc143                      // glvw 3 mb 7 tt1 0 r 0
v_accvgpr_read_b32 v7, acc207                      // glvw 3 mb 7 tt1 0 r 0
s_nop 1                                            // v_accvgpr read vgpr after write vgpr: 2 wait states
v_accvgpr_write_b32 acc140, v5                     // 
v_accvgpr_write_b32 acc204, v6                     // 
v_accvgpr_write_b32 acc141, v7                     // 
v_accvgpr_read_b32 v5, acc222                      // glvw 3 mb 7 tt1 1 r 0
v_accvgpr_read_b32 v6, acc159                      // glvw 3 mb 7 tt1 1 r 0
v_accvgpr_read_b32 v7, acc223                      // glvw 3 mb 7 tt1 1 r 0
s_nop 1                                            // v_accvgpr read vgpr after write vgpr: 2 wait states
v_accvgpr_write_b32 acc156, v5                     // 
v_accvgpr_write_b32 acc220, v6                     // 
v_accvgpr_write_b32 acc157, v7                     // 
v_accvgpr_read_b32 v5, acc238                      // glvw 3 mb 7 tt1 2 r 0
v_accvgpr_read_b32 v6, acc175                      // glvw 3 mb 7 tt1 2 r 0
v_accvgpr_read_b32 v7, acc239                      // glvw 3 mb 7 tt1 2 r 0
s_nop 1                                            // v_accvgpr read vgpr after write vgpr: 2 wait states
v_accvgpr_write_b32 acc172, v5                     // 
v_accvgpr_write_b32 acc236, v6                     // 
v_accvgpr_write_b32 acc173, v7                     // 
v_accvgpr_read_b32 v5, acc254                      // glvw 3 mb 7 tt1 3 r 0
v_accvgpr_read_b32 v6, acc191                      // glvw 3 mb 7 tt1 3 r 0
v_accvgpr_read_b32 v7, acc255                      // glvw 3 mb 7 tt1 3 r 0
s_nop 1                                            // v_accvgpr read vgpr after write vgpr: 2 wait states
v_accvgpr_write_b32 acc188, v5                     // 
v_accvgpr_write_b32 acc252, v6                     // 
v_accvgpr_write_b32 acc189, v7                     // 
s_mov_b64 s[54:55], 0xFFFFFFFFFFFFFFFF             // to restore all threads active
s_or_saveexec_b64 vcc, s[54:55]                    // all threads active
s_branch label_0148                                // done shifting


/******************************************/
/* shift d1 r=4 mb=0 vw0                  */
/******************************************/
label_0082: // r4 mb0 vw0 
s_mov_b32 s54, 0                                   // 
_v_cmpx_eq_u32 s[54:55], v4, s54                   // is thread in edge glvw region
v_and_b32 v0, 63, v[vgprSerial]                    // permute register between threads
v_lshlrev_b32 v0, 2, v0                            // permute register between threads
v_accvgpr_read_b32 v5, acc2                        // glvw 4 mb 0 tt1 0 r 0
v_accvgpr_read_b32 v6, acc66                       // glvw 4 mb 0 tt1 0 r 0
v_accvgpr_read_b32 v7, acc3                        // glvw 4 mb 0 tt1 0 r 0
v_accvgpr_read_b32 v8, acc67                       // glvw 4 mb 0 tt1 0 r 0
s_nop 1                                            // v_accvgpr read vgpr after write vgpr: 2 wait states
v_accvgpr_write_b32 acc0, v5                       // 
v_accvgpr_write_b32 acc64, v6                      // 
v_accvgpr_write_b32 acc1, v7                       // 
v_accvgpr_write_b32 acc65, v8                      // 
v_accvgpr_read_b32 v5, acc18                       // glvw 4 mb 0 tt1 1 r 0
v_accvgpr_read_b32 v6, acc82                       // glvw 4 mb 0 tt1 1 r 0
v_accvgpr_read_b32 v7, acc19                       // glvw 4 mb 0 tt1 1 r 0
v_accvgpr_read_b32 v8, acc83                       // glvw 4 mb 0 tt1 1 r 0
s_nop 1                                            // v_accvgpr read vgpr after write vgpr: 2 wait states
v_accvgpr_write_b32 acc16, v5                      // 
v_accvgpr_write_b32 acc80, v6                      // 
v_accvgpr_write_b32 acc17, v7                      // 
v_accvgpr_write_b32 acc81, v8                      // 
v_accvgpr_read_b32 v5, acc34                       // glvw 4 mb 0 tt1 2 r 0
v_accvgpr_read_b32 v6, acc98                       // glvw 4 mb 0 tt1 2 r 0
v_accvgpr_read_b32 v7, acc35                       // glvw 4 mb 0 tt1 2 r 0
v_accvgpr_read_b32 v8, acc99                       // glvw 4 mb 0 tt1 2 r 0
s_nop 1                                            // v_accvgpr read vgpr after write vgpr: 2 wait states
v_accvgpr_write_b32 acc32, v5                      // 
v_accvgpr_write_b32 acc96, v6                      // 
v_accvgpr_write_b32 acc33, v7                      // 
v_accvgpr_write_b32 acc97, v8                      // 
v_accvgpr_read_b32 v5, acc50                       // glvw 4 mb 0 tt1 3 r 0
v_accvgpr_read_b32 v6, acc114                      // glvw 4 mb 0 tt1 3 r 0
v_accvgpr_read_b32 v7, acc51                       // glvw 4 mb 0 tt1 3 r 0
v_accvgpr_read_b32 v8, acc115                      // glvw 4 mb 0 tt1 3 r 0
s_nop 1                                            // v_accvgpr read vgpr after write vgpr: 2 wait states
v_accvgpr_write_b32 acc48, v5                      // 
v_accvgpr_write_b32 acc112, v6                     // 
v_accvgpr_write_b32 acc49, v7                      // 
v_accvgpr_write_b32 acc113, v8                     // 
s_mov_b64 s[54:55], 0xFFFFFFFFFFFFFFFF             // to restore all threads active
s_or_saveexec_b64 vcc, s[54:55]                    // all threads active
s_branch label_0148                                // done shifting


/******************************************/
/* shift d1 r=4 mb=1 vw0                  */
/******************************************/
label_0084: // r4 mb1 vw0 
s_mov_b32 s54, 2                                   // 
_v_cmpx_eq_u32 s[54:55], v4, s54                   // is thread in edge glvw region
v_and_b32 v0, 63, v[vgprSerial]                    // permute register between threads
v_lshlrev_b32 v0, 2, v0                            // permute register between threads
v_accvgpr_read_b32 v5, acc6                        // glvw 4 mb 1 tt1 0 r 0
v_accvgpr_read_b32 v6, acc70                       // glvw 4 mb 1 tt1 0 r 0
v_accvgpr_read_b32 v7, acc7                        // glvw 4 mb 1 tt1 0 r 0
v_accvgpr_read_b32 v8, acc71                       // glvw 4 mb 1 tt1 0 r 0
s_nop 1                                            // v_accvgpr read vgpr after write vgpr: 2 wait states
v_accvgpr_write_b32 acc4, v5                       // 
v_accvgpr_write_b32 acc68, v6                      // 
v_accvgpr_write_b32 acc5, v7                       // 
v_accvgpr_write_b32 acc69, v8                      // 
v_accvgpr_read_b32 v5, acc22                       // glvw 4 mb 1 tt1 1 r 0
v_accvgpr_read_b32 v6, acc86                       // glvw 4 mb 1 tt1 1 r 0
v_accvgpr_read_b32 v7, acc23                       // glvw 4 mb 1 tt1 1 r 0
v_accvgpr_read_b32 v8, acc87                       // glvw 4 mb 1 tt1 1 r 0
s_nop 1                                            // v_accvgpr read vgpr after write vgpr: 2 wait states
v_accvgpr_write_b32 acc20, v5                      // 
v_accvgpr_write_b32 acc84, v6                      // 
v_accvgpr_write_b32 acc21, v7                      // 
v_accvgpr_write_b32 acc85, v8                      // 
v_accvgpr_read_b32 v5, acc38                       // glvw 4 mb 1 tt1 2 r 0
v_accvgpr_read_b32 v6, acc102                      // glvw 4 mb 1 tt1 2 r 0
v_accvgpr_read_b32 v7, acc39                       // glvw 4 mb 1 tt1 2 r 0
v_accvgpr_read_b32 v8, acc103                      // glvw 4 mb 1 tt1 2 r 0
s_nop 1                                            // v_accvgpr read vgpr after write vgpr: 2 wait states
v_accvgpr_write_b32 acc36, v5                      // 
v_accvgpr_write_b32 acc100, v6                     // 
v_accvgpr_write_b32 acc37, v7                      // 
v_accvgpr_write_b32 acc101, v8                     // 
v_accvgpr_read_b32 v5, acc54                       // glvw 4 mb 1 tt1 3 r 0
v_accvgpr_read_b32 v6, acc118                      // glvw 4 mb 1 tt1 3 r 0
v_accvgpr_read_b32 v7, acc55                       // glvw 4 mb 1 tt1 3 r 0
v_accvgpr_read_b32 v8, acc119                      // glvw 4 mb 1 tt1 3 r 0
s_nop 1                                            // v_accvgpr read vgpr after write vgpr: 2 wait states
v_accvgpr_write_b32 acc52, v5                      // 
v_accvgpr_write_b32 acc116, v6                     // 
v_accvgpr_write_b32 acc53, v7                      // 
v_accvgpr_write_b32 acc117, v8                     // 
s_mov_b64 s[54:55], 0xFFFFFFFFFFFFFFFF             // to restore all threads active
s_or_saveexec_b64 vcc, s[54:55]                    // all threads active
s_branch label_0148                                // done shifting


/******************************************/
/* shift d1 r=4 mb=2 vw0                  */
/******************************************/
label_0086: // r4 mb2 vw0 
s_mov_b32 s54, 4                                   // 
_v_cmpx_eq_u32 s[54:55], v4, s54                   // is thread in edge glvw region
v_and_b32 v0, 63, v[vgprSerial]                    // permute register between threads
v_lshlrev_b32 v0, 2, v0                            // permute register between threads
v_accvgpr_read_b32 v5, acc10                       // glvw 4 mb 2 tt1 0 r 0
v_accvgpr_read_b32 v6, acc74                       // glvw 4 mb 2 tt1 0 r 0
v_accvgpr_read_b32 v7, acc11                       // glvw 4 mb 2 tt1 0 r 0
v_accvgpr_read_b32 v8, acc75                       // glvw 4 mb 2 tt1 0 r 0
s_nop 1                                            // v_accvgpr read vgpr after write vgpr: 2 wait states
v_accvgpr_write_b32 acc8, v5                       // 
v_accvgpr_write_b32 acc72, v6                      // 
v_accvgpr_write_b32 acc9, v7                       // 
v_accvgpr_write_b32 acc73, v8                      // 
v_accvgpr_read_b32 v5, acc26                       // glvw 4 mb 2 tt1 1 r 0
v_accvgpr_read_b32 v6, acc90                       // glvw 4 mb 2 tt1 1 r 0
v_accvgpr_read_b32 v7, acc27                       // glvw 4 mb 2 tt1 1 r 0
v_accvgpr_read_b32 v8, acc91                       // glvw 4 mb 2 tt1 1 r 0
s_nop 1                                            // v_accvgpr read vgpr after write vgpr: 2 wait states
v_accvgpr_write_b32 acc24, v5                      // 
v_accvgpr_write_b32 acc88, v6                      // 
v_accvgpr_write_b32 acc25, v7                      // 
v_accvgpr_write_b32 acc89, v8                      // 
v_accvgpr_read_b32 v5, acc42                       // glvw 4 mb 2 tt1 2 r 0
v_accvgpr_read_b32 v6, acc106                      // glvw 4 mb 2 tt1 2 r 0
v_accvgpr_read_b32 v7, acc43                       // glvw 4 mb 2 tt1 2 r 0
v_accvgpr_read_b32 v8, acc107                      // glvw 4 mb 2 tt1 2 r 0
s_nop 1                                            // v_accvgpr read vgpr after write vgpr: 2 wait states
v_accvgpr_write_b32 acc40, v5                      // 
v_accvgpr_write_b32 acc104, v6                     // 
v_accvgpr_write_b32 acc41, v7                      // 
v_accvgpr_write_b32 acc105, v8                     // 
v_accvgpr_read_b32 v5, acc58                       // glvw 4 mb 2 tt1 3 r 0
v_accvgpr_read_b32 v6, acc122                      // glvw 4 mb 2 tt1 3 r 0
v_accvgpr_read_b32 v7, acc59                       // glvw 4 mb 2 tt1 3 r 0
v_accvgpr_read_b32 v8, acc123                      // glvw 4 mb 2 tt1 3 r 0
s_nop 1                                            // v_accvgpr read vgpr after write vgpr: 2 wait states
v_accvgpr_write_b32 acc56, v5                      // 
v_accvgpr_write_b32 acc120, v6                     // 
v_accvgpr_write_b32 acc57, v7                      // 
v_accvgpr_write_b32 acc121, v8                     // 
s_mov_b64 s[54:55], 0xFFFFFFFFFFFFFFFF             // to restore all threads active
s_or_saveexec_b64 vcc, s[54:55]                    // all threads active
s_branch label_0148                                // done shifting


/******************************************/
/* shift d1 r=4 mb=3 vw0                  */
/******************************************/
label_0088: // r4 mb3 vw0 
s_mov_b32 s54, 6                                   // 
_v_cmpx_eq_u32 s[54:55], v4, s54                   // is thread in edge glvw region
v_and_b32 v0, 63, v[vgprSerial]                    // permute register between threads
v_lshlrev_b32 v0, 2, v0                            // permute register between threads
v_accvgpr_read_b32 v5, acc14                       // glvw 4 mb 3 tt1 0 r 0
v_accvgpr_read_b32 v6, acc78                       // glvw 4 mb 3 tt1 0 r 0
v_accvgpr_read_b32 v7, acc15                       // glvw 4 mb 3 tt1 0 r 0
v_accvgpr_read_b32 v8, acc79                       // glvw 4 mb 3 tt1 0 r 0
s_nop 1                                            // v_accvgpr read vgpr after write vgpr: 2 wait states
v_accvgpr_write_b32 acc12, v5                      // 
v_accvgpr_write_b32 acc76, v6                      // 
v_accvgpr_write_b32 acc13, v7                      // 
v_accvgpr_write_b32 acc77, v8                      // 
v_accvgpr_read_b32 v5, acc30                       // glvw 4 mb 3 tt1 1 r 0
v_accvgpr_read_b32 v6, acc94                       // glvw 4 mb 3 tt1 1 r 0
v_accvgpr_read_b32 v7, acc31                       // glvw 4 mb 3 tt1 1 r 0
v_accvgpr_read_b32 v8, acc95                       // glvw 4 mb 3 tt1 1 r 0
s_nop 1                                            // v_accvgpr read vgpr after write vgpr: 2 wait states
v_accvgpr_write_b32 acc28, v5                      // 
v_accvgpr_write_b32 acc92, v6                      // 
v_accvgpr_write_b32 acc29, v7                      // 
v_accvgpr_write_b32 acc93, v8                      // 
v_accvgpr_read_b32 v5, acc46                       // glvw 4 mb 3 tt1 2 r 0
v_accvgpr_read_b32 v6, acc110                      // glvw 4 mb 3 tt1 2 r 0
v_accvgpr_read_b32 v7, acc47                       // glvw 4 mb 3 tt1 2 r 0
v_accvgpr_read_b32 v8, acc111                      // glvw 4 mb 3 tt1 2 r 0
s_nop 1                                            // v_accvgpr read vgpr after write vgpr: 2 wait states
v_accvgpr_write_b32 acc44, v5                      // 
v_accvgpr_write_b32 acc108, v6                     // 
v_accvgpr_write_b32 acc45, v7                      // 
v_accvgpr_write_b32 acc109, v8                     // 
v_accvgpr_read_b32 v5, acc62                       // glvw 4 mb 3 tt1 3 r 0
v_accvgpr_read_b32 v6, acc126                      // glvw 4 mb 3 tt1 3 r 0
v_accvgpr_read_b32 v7, acc63                       // glvw 4 mb 3 tt1 3 r 0
v_accvgpr_read_b32 v8, acc127                      // glvw 4 mb 3 tt1 3 r 0
s_nop 1                                            // v_accvgpr read vgpr after write vgpr: 2 wait states
v_accvgpr_write_b32 acc60, v5                      // 
v_accvgpr_write_b32 acc124, v6                     // 
v_accvgpr_write_b32 acc61, v7                      // 
v_accvgpr_write_b32 acc125, v8                     // 
s_mov_b64 s[54:55], 0xFFFFFFFFFFFFFFFF             // to restore all threads active
s_or_saveexec_b64 vcc, s[54:55]                    // all threads active
s_branch label_0148                                // done shifting


/******************************************/
/* shift d1 r=4 mb=4 vw0                  */
/******************************************/
label_0090: // r4 mb4 vw0 
s_mov_b32 s54, 16                                  // 
_v_cmpx_eq_u32 s[54:55], v4, s54                   // is thread in edge glvw region
v_and_b32 v0, 63, v[vgprSerial]                    // permute register between threads
v_lshlrev_b32 v0, 2, v0                            // permute register between threads
v_accvgpr_read_b32 v5, acc130                      // glvw 4 mb 4 tt1 0 r 0
v_accvgpr_read_b32 v6, acc194                      // glvw 4 mb 4 tt1 0 r 0
v_accvgpr_read_b32 v7, acc131                      // glvw 4 mb 4 tt1 0 r 0
v_accvgpr_read_b32 v8, acc195                      // glvw 4 mb 4 tt1 0 r 0
s_nop 1                                            // v_accvgpr read vgpr after write vgpr: 2 wait states
v_accvgpr_write_b32 acc128, v5                     // 
v_accvgpr_write_b32 acc192, v6                     // 
v_accvgpr_write_b32 acc129, v7                     // 
v_accvgpr_write_b32 acc193, v8                     // 
v_accvgpr_read_b32 v5, acc146                      // glvw 4 mb 4 tt1 1 r 0
v_accvgpr_read_b32 v6, acc210                      // glvw 4 mb 4 tt1 1 r 0
v_accvgpr_read_b32 v7, acc147                      // glvw 4 mb 4 tt1 1 r 0
v_accvgpr_read_b32 v8, acc211                      // glvw 4 mb 4 tt1 1 r 0
s_nop 1                                            // v_accvgpr read vgpr after write vgpr: 2 wait states
v_accvgpr_write_b32 acc144, v5                     // 
v_accvgpr_write_b32 acc208, v6                     // 
v_accvgpr_write_b32 acc145, v7                     // 
v_accvgpr_write_b32 acc209, v8                     // 
v_accvgpr_read_b32 v5, acc162                      // glvw 4 mb 4 tt1 2 r 0
v_accvgpr_read_b32 v6, acc226                      // glvw 4 mb 4 tt1 2 r 0
v_accvgpr_read_b32 v7, acc163                      // glvw 4 mb 4 tt1 2 r 0
v_accvgpr_read_b32 v8, acc227                      // glvw 4 mb 4 tt1 2 r 0
s_nop 1                                            // v_accvgpr read vgpr after write vgpr: 2 wait states
v_accvgpr_write_b32 acc160, v5                     // 
v_accvgpr_write_b32 acc224, v6                     // 
v_accvgpr_write_b32 acc161, v7                     // 
v_accvgpr_write_b32 acc225, v8                     // 
v_accvgpr_read_b32 v5, acc178                      // glvw 4 mb 4 tt1 3 r 0
v_accvgpr_read_b32 v6, acc242                      // glvw 4 mb 4 tt1 3 r 0
v_accvgpr_read_b32 v7, acc179                      // glvw 4 mb 4 tt1 3 r 0
v_accvgpr_read_b32 v8, acc243                      // glvw 4 mb 4 tt1 3 r 0
s_nop 1                                            // v_accvgpr read vgpr after write vgpr: 2 wait states
v_accvgpr_write_b32 acc176, v5                     // 
v_accvgpr_write_b32 acc240, v6                     // 
v_accvgpr_write_b32 acc177, v7                     // 
v_accvgpr_write_b32 acc241, v8                     // 
s_mov_b64 s[54:55], 0xFFFFFFFFFFFFFFFF             // to restore all threads active
s_or_saveexec_b64 vcc, s[54:55]                    // all threads active
s_branch label_0148                                // done shifting


/******************************************/
/* shift d1 r=4 mb=5 vw0                  */
/******************************************/
label_0092: // r4 mb5 vw0 
s_mov_b32 s54, 18                                  // 
_v_cmpx_eq_u32 s[54:55], v4, s54                   // is thread in edge glvw region
v_and_b32 v0, 63, v[vgprSerial]                    // permute register between threads
v_lshlrev_b32 v0, 2, v0                            // permute register between threads
v_accvgpr_read_b32 v5, acc134                      // glvw 4 mb 5 tt1 0 r 0
v_accvgpr_read_b32 v6, acc198                      // glvw 4 mb 5 tt1 0 r 0
v_accvgpr_read_b32 v7, acc135                      // glvw 4 mb 5 tt1 0 r 0
v_accvgpr_read_b32 v8, acc199                      // glvw 4 mb 5 tt1 0 r 0
s_nop 1                                            // v_accvgpr read vgpr after write vgpr: 2 wait states
v_accvgpr_write_b32 acc132, v5                     // 
v_accvgpr_write_b32 acc196, v6                     // 
v_accvgpr_write_b32 acc133, v7                     // 
v_accvgpr_write_b32 acc197, v8                     // 
v_accvgpr_read_b32 v5, acc150                      // glvw 4 mb 5 tt1 1 r 0
v_accvgpr_read_b32 v6, acc214                      // glvw 4 mb 5 tt1 1 r 0
v_accvgpr_read_b32 v7, acc151                      // glvw 4 mb 5 tt1 1 r 0
v_accvgpr_read_b32 v8, acc215                      // glvw 4 mb 5 tt1 1 r 0
s_nop 1                                            // v_accvgpr read vgpr after write vgpr: 2 wait states
v_accvgpr_write_b32 acc148, v5                     // 
v_accvgpr_write_b32 acc212, v6                     // 
v_accvgpr_write_b32 acc149, v7                     // 
v_accvgpr_write_b32 acc213, v8                     // 
v_accvgpr_read_b32 v5, acc166                      // glvw 4 mb 5 tt1 2 r 0
v_accvgpr_read_b32 v6, acc230                      // glvw 4 mb 5 tt1 2 r 0
v_accvgpr_read_b32 v7, acc167                      // glvw 4 mb 5 tt1 2 r 0
v_accvgpr_read_b32 v8, acc231                      // glvw 4 mb 5 tt1 2 r 0
s_nop 1                                            // v_accvgpr read vgpr after write vgpr: 2 wait states
v_accvgpr_write_b32 acc164, v5                     // 
v_accvgpr_write_b32 acc228, v6                     // 
v_accvgpr_write_b32 acc165, v7                     // 
v_accvgpr_write_b32 acc229, v8                     // 
v_accvgpr_read_b32 v5, acc182                      // glvw 4 mb 5 tt1 3 r 0
v_accvgpr_read_b32 v6, acc246                      // glvw 4 mb 5 tt1 3 r 0
v_accvgpr_read_b32 v7, acc183                      // glvw 4 mb 5 tt1 3 r 0
v_accvgpr_read_b32 v8, acc247                      // glvw 4 mb 5 tt1 3 r 0
s_nop 1                                            // v_accvgpr read vgpr after write vgpr: 2 wait states
v_accvgpr_write_b32 acc180, v5                     // 
v_accvgpr_write_b32 acc244, v6                     // 
v_accvgpr_write_b32 acc181, v7                     // 
v_accvgpr_write_b32 acc245, v8                     // 
s_mov_b64 s[54:55], 0xFFFFFFFFFFFFFFFF             // to restore all threads active
s_or_saveexec_b64 vcc, s[54:55]                    // all threads active
s_branch label_0148                                // done shifting


/******************************************/
/* shift d1 r=4 mb=6 vw0                  */
/******************************************/
label_0094: // r4 mb6 vw0 
s_mov_b32 s54, 20                                  // 
_v_cmpx_eq_u32 s[54:55], v4, s54                   // is thread in edge glvw region
v_and_b32 v0, 63, v[vgprSerial]                    // permute register between threads
v_lshlrev_b32 v0, 2, v0                            // permute register between threads
v_accvgpr_read_b32 v5, acc138                      // glvw 4 mb 6 tt1 0 r 0
v_accvgpr_read_b32 v6, acc202                      // glvw 4 mb 6 tt1 0 r 0
v_accvgpr_read_b32 v7, acc139                      // glvw 4 mb 6 tt1 0 r 0
v_accvgpr_read_b32 v8, acc203                      // glvw 4 mb 6 tt1 0 r 0
s_nop 1                                            // v_accvgpr read vgpr after write vgpr: 2 wait states
v_accvgpr_write_b32 acc136, v5                     // 
v_accvgpr_write_b32 acc200, v6                     // 
v_accvgpr_write_b32 acc137, v7                     // 
v_accvgpr_write_b32 acc201, v8                     // 
v_accvgpr_read_b32 v5, acc154                      // glvw 4 mb 6 tt1 1 r 0
v_accvgpr_read_b32 v6, acc218                      // glvw 4 mb 6 tt1 1 r 0
v_accvgpr_read_b32 v7, acc155                      // glvw 4 mb 6 tt1 1 r 0
v_accvgpr_read_b32 v8, acc219                      // glvw 4 mb 6 tt1 1 r 0
s_nop 1                                            // v_accvgpr read vgpr after write vgpr: 2 wait states
v_accvgpr_write_b32 acc152, v5                     // 
v_accvgpr_write_b32 acc216, v6                     // 
v_accvgpr_write_b32 acc153, v7                     // 
v_accvgpr_write_b32 acc217, v8                     // 
v_accvgpr_read_b32 v5, acc170                      // glvw 4 mb 6 tt1 2 r 0
v_accvgpr_read_b32 v6, acc234                      // glvw 4 mb 6 tt1 2 r 0
v_accvgpr_read_b32 v7, acc171                      // glvw 4 mb 6 tt1 2 r 0
v_accvgpr_read_b32 v8, acc235                      // glvw 4 mb 6 tt1 2 r 0
s_nop 1                                            // v_accvgpr read vgpr after write vgpr: 2 wait states
v_accvgpr_write_b32 acc168, v5                     // 
v_accvgpr_write_b32 acc232, v6                     // 
v_accvgpr_write_b32 acc169, v7                     // 
v_accvgpr_write_b32 acc233, v8                     // 
v_accvgpr_read_b32 v5, acc186                      // glvw 4 mb 6 tt1 3 r 0
v_accvgpr_read_b32 v6, acc250                      // glvw 4 mb 6 tt1 3 r 0
v_accvgpr_read_b32 v7, acc187                      // glvw 4 mb 6 tt1 3 r 0
v_accvgpr_read_b32 v8, acc251                      // glvw 4 mb 6 tt1 3 r 0
s_nop 1                                            // v_accvgpr read vgpr after write vgpr: 2 wait states
v_accvgpr_write_b32 acc184, v5                     // 
v_accvgpr_write_b32 acc248, v6                     // 
v_accvgpr_write_b32 acc185, v7                     // 
v_accvgpr_write_b32 acc249, v8                     // 
s_mov_b64 s[54:55], 0xFFFFFFFFFFFFFFFF             // to restore all threads active
s_or_saveexec_b64 vcc, s[54:55]                    // all threads active
s_branch label_0148                                // done shifting


/******************************************/
/* shift d1 r=4 mb=7 vw0                  */
/******************************************/
label_0096: // r4 mb7 vw0 
s_mov_b32 s54, 22                                  // 
_v_cmpx_eq_u32 s[54:55], v4, s54                   // is thread in edge glvw region
v_and_b32 v0, 63, v[vgprSerial]                    // permute register between threads
v_lshlrev_b32 v0, 2, v0                            // permute register between threads
v_accvgpr_read_b32 v5, acc142                      // glvw 4 mb 7 tt1 0 r 0
v_accvgpr_read_b32 v6, acc206                      // glvw 4 mb 7 tt1 0 r 0
v_accvgpr_read_b32 v7, acc143                      // glvw 4 mb 7 tt1 0 r 0
v_accvgpr_read_b32 v8, acc207                      // glvw 4 mb 7 tt1 0 r 0
s_nop 1                                            // v_accvgpr read vgpr after write vgpr: 2 wait states
v_accvgpr_write_b32 acc140, v5                     // 
v_accvgpr_write_b32 acc204, v6                     // 
v_accvgpr_write_b32 acc141, v7                     // 
v_accvgpr_write_b32 acc205, v8                     // 
v_accvgpr_read_b32 v5, acc158                      // glvw 4 mb 7 tt1 1 r 0
v_accvgpr_read_b32 v6, acc222                      // glvw 4 mb 7 tt1 1 r 0
v_accvgpr_read_b32 v7, acc159                      // glvw 4 mb 7 tt1 1 r 0
v_accvgpr_read_b32 v8, acc223                      // glvw 4 mb 7 tt1 1 r 0
s_nop 1                                            // v_accvgpr read vgpr after write vgpr: 2 wait states
v_accvgpr_write_b32 acc156, v5                     // 
v_accvgpr_write_b32 acc220, v6                     // 
v_accvgpr_write_b32 acc157, v7                     // 
v_accvgpr_write_b32 acc221, v8                     // 
v_accvgpr_read_b32 v5, acc174                      // glvw 4 mb 7 tt1 2 r 0
v_accvgpr_read_b32 v6, acc238                      // glvw 4 mb 7 tt1 2 r 0
v_accvgpr_read_b32 v7, acc175                      // glvw 4 mb 7 tt1 2 r 0
v_accvgpr_read_b32 v8, acc239                      // glvw 4 mb 7 tt1 2 r 0
s_nop 1                                            // v_accvgpr read vgpr after write vgpr: 2 wait states
v_accvgpr_write_b32 acc172, v5                     // 
v_accvgpr_write_b32 acc236, v6                     // 
v_accvgpr_write_b32 acc173, v7                     // 
v_accvgpr_write_b32 acc237, v8                     // 
v_accvgpr_read_b32 v5, acc190                      // glvw 4 mb 7 tt1 3 r 0
v_accvgpr_read_b32 v6, acc254                      // glvw 4 mb 7 tt1 3 r 0
v_accvgpr_read_b32 v7, acc191                      // glvw 4 mb 7 tt1 3 r 0
v_accvgpr_read_b32 v8, acc255                      // glvw 4 mb 7 tt1 3 r 0
s_nop 1                                            // v_accvgpr read vgpr after write vgpr: 2 wait states
v_accvgpr_write_b32 acc188, v5                     // 
v_accvgpr_write_b32 acc252, v6                     // 
v_accvgpr_write_b32 acc189, v7                     // 
v_accvgpr_write_b32 acc253, v8                     // 
s_mov_b64 s[54:55], 0xFFFFFFFFFFFFFFFF             // to restore all threads active
s_or_saveexec_b64 vcc, s[54:55]                    // all threads active
s_branch label_0148                                // done shifting


/******************************************/
/* shift d1 r=5 mb=0 vw0                  */
/******************************************/
label_0099: // r5 mb0 vw0 
s_mov_b32 s54, 0                                   // 
_v_cmpx_eq_u32 s[54:55], v4, s54                   // is thread in edge glvw region
v_and_b32 v0, 63, v[vgprSerial]                    // permute register between threads
v_lshlrev_b32 v0, 2, v0                            // permute register between threads
v_accvgpr_read_b32 v5, acc65                       // glvw 5 mb 0 tt1 0 r 0
v_accvgpr_read_b32 v6, acc2                        // glvw 5 mb 0 tt1 0 r 0
v_accvgpr_read_b32 v7, acc66                       // glvw 5 mb 0 tt1 0 r 0
v_accvgpr_read_b32 v8, acc3                        // glvw 5 mb 0 tt1 0 r 0
v_accvgpr_read_b32 v9, acc67                       // glvw 5 mb 0 tt1 0 r 0
s_nop 1                                            // v_accvgpr read vgpr after write vgpr: 2 wait states
v_accvgpr_write_b32 acc0, v5                       // 
v_accvgpr_write_b32 acc64, v6                      // 
v_accvgpr_write_b32 acc1, v7                       // 
v_accvgpr_write_b32 acc65, v8                      // 
v_accvgpr_write_b32 acc2, v9                       // 
v_accvgpr_read_b32 v5, acc81                       // glvw 5 mb 0 tt1 1 r 0
v_accvgpr_read_b32 v6, acc18                       // glvw 5 mb 0 tt1 1 r 0
v_accvgpr_read_b32 v7, acc82                       // glvw 5 mb 0 tt1 1 r 0
v_accvgpr_read_b32 v8, acc19                       // glvw 5 mb 0 tt1 1 r 0
v_accvgpr_read_b32 v9, acc83                       // glvw 5 mb 0 tt1 1 r 0
s_nop 1                                            // v_accvgpr read vgpr after write vgpr: 2 wait states
v_accvgpr_write_b32 acc16, v5                      // 
v_accvgpr_write_b32 acc80, v6                      // 
v_accvgpr_write_b32 acc17, v7                      // 
v_accvgpr_write_b32 acc81, v8                      // 
v_accvgpr_write_b32 acc18, v9                      // 
v_accvgpr_read_b32 v5, acc97                       // glvw 5 mb 0 tt1 2 r 0
v_accvgpr_read_b32 v6, acc34                       // glvw 5 mb 0 tt1 2 r 0
v_accvgpr_read_b32 v7, acc98                       // glvw 5 mb 0 tt1 2 r 0
v_accvgpr_read_b32 v8, acc35                       // glvw 5 mb 0 tt1 2 r 0
v_accvgpr_read_b32 v9, acc99                       // glvw 5 mb 0 tt1 2 r 0
s_nop 1                                            // v_accvgpr read vgpr after write vgpr: 2 wait states
v_accvgpr_write_b32 acc32, v5                      // 
v_accvgpr_write_b32 acc96, v6                      // 
v_accvgpr_write_b32 acc33, v7                      // 
v_accvgpr_write_b32 acc97, v8                      // 
v_accvgpr_write_b32 acc34, v9                      // 
v_accvgpr_read_b32 v5, acc113                      // glvw 5 mb 0 tt1 3 r 0
v_accvgpr_read_b32 v6, acc50                       // glvw 5 mb 0 tt1 3 r 0
v_accvgpr_read_b32 v7, acc114                      // glvw 5 mb 0 tt1 3 r 0
v_accvgpr_read_b32 v8, acc51                       // glvw 5 mb 0 tt1 3 r 0
v_accvgpr_read_b32 v9, acc115                      // glvw 5 mb 0 tt1 3 r 0
s_nop 1                                            // v_accvgpr read vgpr after write vgpr: 2 wait states
v_accvgpr_write_b32 acc48, v5                      // 
v_accvgpr_write_b32 acc112, v6                     // 
v_accvgpr_write_b32 acc49, v7                      // 
v_accvgpr_write_b32 acc113, v8                     // 
v_accvgpr_write_b32 acc50, v9                      // 
s_mov_b64 s[54:55], 0xFFFFFFFFFFFFFFFF             // to restore all threads active
s_or_saveexec_b64 vcc, s[54:55]                    // all threads active
s_branch label_0148                                // done shifting


/******************************************/
/* shift d1 r=5 mb=1 vw0                  */
/******************************************/
label_0101: // r5 mb1 vw0 
s_mov_b32 s54, 2                                   // 
_v_cmpx_eq_u32 s[54:55], v4, s54                   // is thread in edge glvw region
v_and_b32 v0, 63, v[vgprSerial]                    // permute register between threads
v_lshlrev_b32 v0, 2, v0                            // permute register between threads
v_accvgpr_read_b32 v5, acc69                       // glvw 5 mb 1 tt1 0 r 0
v_accvgpr_read_b32 v6, acc6                        // glvw 5 mb 1 tt1 0 r 0
v_accvgpr_read_b32 v7, acc70                       // glvw 5 mb 1 tt1 0 r 0
v_accvgpr_read_b32 v8, acc7                        // glvw 5 mb 1 tt1 0 r 0
v_accvgpr_read_b32 v9, acc71                       // glvw 5 mb 1 tt1 0 r 0
s_nop 1                                            // v_accvgpr read vgpr after write vgpr: 2 wait states
v_accvgpr_write_b32 acc4, v5                       // 
v_accvgpr_write_b32 acc68, v6                      // 
v_accvgpr_write_b32 acc5, v7                       // 
v_accvgpr_write_b32 acc69, v8                      // 
v_accvgpr_write_b32 acc6, v9                       // 
v_accvgpr_read_b32 v5, acc85                       // glvw 5 mb 1 tt1 1 r 0
v_accvgpr_read_b32 v6, acc22                       // glvw 5 mb 1 tt1 1 r 0
v_accvgpr_read_b32 v7, acc86                       // glvw 5 mb 1 tt1 1 r 0
v_accvgpr_read_b32 v8, acc23                       // glvw 5 mb 1 tt1 1 r 0
v_accvgpr_read_b32 v9, acc87                       // glvw 5 mb 1 tt1 1 r 0
s_nop 1                                            // v_accvgpr read vgpr after write vgpr: 2 wait states
v_accvgpr_write_b32 acc20, v5                      // 
v_accvgpr_write_b32 acc84, v6                      // 
v_accvgpr_write_b32 acc21, v7                      // 
v_accvgpr_write_b32 acc85, v8                      // 
v_accvgpr_write_b32 acc22, v9                      // 
v_accvgpr_read_b32 v5, acc101                      // glvw 5 mb 1 tt1 2 r 0
v_accvgpr_read_b32 v6, acc38                       // glvw 5 mb 1 tt1 2 r 0
v_accvgpr_read_b32 v7, acc102                      // glvw 5 mb 1 tt1 2 r 0
v_accvgpr_read_b32 v8, acc39                       // glvw 5 mb 1 tt1 2 r 0
v_accvgpr_read_b32 v9, acc103                      // glvw 5 mb 1 tt1 2 r 0
s_nop 1                                            // v_accvgpr read vgpr after write vgpr: 2 wait states
v_accvgpr_write_b32 acc36, v5                      // 
v_accvgpr_write_b32 acc100, v6                     // 
v_accvgpr_write_b32 acc37, v7                      // 
v_accvgpr_write_b32 acc101, v8                     // 
v_accvgpr_write_b32 acc38, v9                      // 
v_accvgpr_read_b32 v5, acc117                      // glvw 5 mb 1 tt1 3 r 0
v_accvgpr_read_b32 v6, acc54                       // glvw 5 mb 1 tt1 3 r 0
v_accvgpr_read_b32 v7, acc118                      // glvw 5 mb 1 tt1 3 r 0
v_accvgpr_read_b32 v8, acc55                       // glvw 5 mb 1 tt1 3 r 0
v_accvgpr_read_b32 v9, acc119                      // glvw 5 mb 1 tt1 3 r 0
s_nop 1                                            // v_accvgpr read vgpr after write vgpr: 2 wait states
v_accvgpr_write_b32 acc52, v5                      // 
v_accvgpr_write_b32 acc116, v6                     // 
v_accvgpr_write_b32 acc53, v7                      // 
v_accvgpr_write_b32 acc117, v8                     // 
v_accvgpr_write_b32 acc54, v9                      // 
s_mov_b64 s[54:55], 0xFFFFFFFFFFFFFFFF             // to restore all threads active
s_or_saveexec_b64 vcc, s[54:55]                    // all threads active
s_branch label_0148                                // done shifting


/******************************************/
/* shift d1 r=5 mb=2 vw0                  */
/******************************************/
label_0103: // r5 mb2 vw0 
s_mov_b32 s54, 4                                   // 
_v_cmpx_eq_u32 s[54:55], v4, s54                   // is thread in edge glvw region
v_and_b32 v0, 63, v[vgprSerial]                    // permute register between threads
v_lshlrev_b32 v0, 2, v0                            // permute register between threads
v_accvgpr_read_b32 v5, acc73                       // glvw 5 mb 2 tt1 0 r 0
v_accvgpr_read_b32 v6, acc10                       // glvw 5 mb 2 tt1 0 r 0
v_accvgpr_read_b32 v7, acc74                       // glvw 5 mb 2 tt1 0 r 0
v_accvgpr_read_b32 v8, acc11                       // glvw 5 mb 2 tt1 0 r 0
v_accvgpr_read_b32 v9, acc75                       // glvw 5 mb 2 tt1 0 r 0
s_nop 1                                            // v_accvgpr read vgpr after write vgpr: 2 wait states
v_accvgpr_write_b32 acc8, v5                       // 
v_accvgpr_write_b32 acc72, v6                      // 
v_accvgpr_write_b32 acc9, v7                       // 
v_accvgpr_write_b32 acc73, v8                      // 
v_accvgpr_write_b32 acc10, v9                      // 
v_accvgpr_read_b32 v5, acc89                       // glvw 5 mb 2 tt1 1 r 0
v_accvgpr_read_b32 v6, acc26                       // glvw 5 mb 2 tt1 1 r 0
v_accvgpr_read_b32 v7, acc90                       // glvw 5 mb 2 tt1 1 r 0
v_accvgpr_read_b32 v8, acc27                       // glvw 5 mb 2 tt1 1 r 0
v_accvgpr_read_b32 v9, acc91                       // glvw 5 mb 2 tt1 1 r 0
s_nop 1                                            // v_accvgpr read vgpr after write vgpr: 2 wait states
v_accvgpr_write_b32 acc24, v5                      // 
v_accvgpr_write_b32 acc88, v6                      // 
v_accvgpr_write_b32 acc25, v7                      // 
v_accvgpr_write_b32 acc89, v8                      // 
v_accvgpr_write_b32 acc26, v9                      // 
v_accvgpr_read_b32 v5, acc105                      // glvw 5 mb 2 tt1 2 r 0
v_accvgpr_read_b32 v6, acc42                       // glvw 5 mb 2 tt1 2 r 0
v_accvgpr_read_b32 v7, acc106                      // glvw 5 mb 2 tt1 2 r 0
v_accvgpr_read_b32 v8, acc43                       // glvw 5 mb 2 tt1 2 r 0
v_accvgpr_read_b32 v9, acc107                      // glvw 5 mb 2 tt1 2 r 0
s_nop 1                                            // v_accvgpr read vgpr after write vgpr: 2 wait states
v_accvgpr_write_b32 acc40, v5                      // 
v_accvgpr_write_b32 acc104, v6                     // 
v_accvgpr_write_b32 acc41, v7                      // 
v_accvgpr_write_b32 acc105, v8                     // 
v_accvgpr_write_b32 acc42, v9                      // 
v_accvgpr_read_b32 v5, acc121                      // glvw 5 mb 2 tt1 3 r 0
v_accvgpr_read_b32 v6, acc58                       // glvw 5 mb 2 tt1 3 r 0
v_accvgpr_read_b32 v7, acc122                      // glvw 5 mb 2 tt1 3 r 0
v_accvgpr_read_b32 v8, acc59                       // glvw 5 mb 2 tt1 3 r 0
v_accvgpr_read_b32 v9, acc123                      // glvw 5 mb 2 tt1 3 r 0
s_nop 1                                            // v_accvgpr read vgpr after write vgpr: 2 wait states
v_accvgpr_write_b32 acc56, v5                      // 
v_accvgpr_write_b32 acc120, v6                     // 
v_accvgpr_write_b32 acc57, v7                      // 
v_accvgpr_write_b32 acc121, v8                     // 
v_accvgpr_write_b32 acc58, v9                      // 
s_mov_b64 s[54:55], 0xFFFFFFFFFFFFFFFF             // to restore all threads active
s_or_saveexec_b64 vcc, s[54:55]                    // all threads active
s_branch label_0148                                // done shifting


/******************************************/
/* shift d1 r=5 mb=3 vw0                  */
/******************************************/
label_0105: // r5 mb3 vw0 
s_mov_b32 s54, 6                                   // 
_v_cmpx_eq_u32 s[54:55], v4, s54                   // is thread in edge glvw region
v_and_b32 v0, 63, v[vgprSerial]                    // permute register between threads
v_lshlrev_b32 v0, 2, v0                            // permute register between threads
v_accvgpr_read_b32 v5, acc77                       // glvw 5 mb 3 tt1 0 r 0
v_accvgpr_read_b32 v6, acc14                       // glvw 5 mb 3 tt1 0 r 0
v_accvgpr_read_b32 v7, acc78                       // glvw 5 mb 3 tt1 0 r 0
v_accvgpr_read_b32 v8, acc15                       // glvw 5 mb 3 tt1 0 r 0
v_accvgpr_read_b32 v9, acc79                       // glvw 5 mb 3 tt1 0 r 0
s_nop 1                                            // v_accvgpr read vgpr after write vgpr: 2 wait states
v_accvgpr_write_b32 acc12, v5                      // 
v_accvgpr_write_b32 acc76, v6                      // 
v_accvgpr_write_b32 acc13, v7                      // 
v_accvgpr_write_b32 acc77, v8                      // 
v_accvgpr_write_b32 acc14, v9                      // 
v_accvgpr_read_b32 v5, acc93                       // glvw 5 mb 3 tt1 1 r 0
v_accvgpr_read_b32 v6, acc30                       // glvw 5 mb 3 tt1 1 r 0
v_accvgpr_read_b32 v7, acc94                       // glvw 5 mb 3 tt1 1 r 0
v_accvgpr_read_b32 v8, acc31                       // glvw 5 mb 3 tt1 1 r 0
v_accvgpr_read_b32 v9, acc95                       // glvw 5 mb 3 tt1 1 r 0
s_nop 1                                            // v_accvgpr read vgpr after write vgpr: 2 wait states
v_accvgpr_write_b32 acc28, v5                      // 
v_accvgpr_write_b32 acc92, v6                      // 
v_accvgpr_write_b32 acc29, v7                      // 
v_accvgpr_write_b32 acc93, v8                      // 
v_accvgpr_write_b32 acc30, v9                      // 
v_accvgpr_read_b32 v5, acc109                      // glvw 5 mb 3 tt1 2 r 0
v_accvgpr_read_b32 v6, acc46                       // glvw 5 mb 3 tt1 2 r 0
v_accvgpr_read_b32 v7, acc110                      // glvw 5 mb 3 tt1 2 r 0
v_accvgpr_read_b32 v8, acc47                       // glvw 5 mb 3 tt1 2 r 0
v_accvgpr_read_b32 v9, acc111                      // glvw 5 mb 3 tt1 2 r 0
s_nop 1                                            // v_accvgpr read vgpr after write vgpr: 2 wait states
v_accvgpr_write_b32 acc44, v5                      // 
v_accvgpr_write_b32 acc108, v6                     // 
v_accvgpr_write_b32 acc45, v7                      // 
v_accvgpr_write_b32 acc109, v8                     // 
v_accvgpr_write_b32 acc46, v9                      // 
v_accvgpr_read_b32 v5, acc125                      // glvw 5 mb 3 tt1 3 r 0
v_accvgpr_read_b32 v6, acc62                       // glvw 5 mb 3 tt1 3 r 0
v_accvgpr_read_b32 v7, acc126                      // glvw 5 mb 3 tt1 3 r 0
v_accvgpr_read_b32 v8, acc63                       // glvw 5 mb 3 tt1 3 r 0
v_accvgpr_read_b32 v9, acc127                      // glvw 5 mb 3 tt1 3 r 0
s_nop 1                                            // v_accvgpr read vgpr after write vgpr: 2 wait states
v_accvgpr_write_b32 acc60, v5                      // 
v_accvgpr_write_b32 acc124, v6                     // 
v_accvgpr_write_b32 acc61, v7                      // 
v_accvgpr_write_b32 acc125, v8                     // 
v_accvgpr_write_b32 acc62, v9                      // 
s_mov_b64 s[54:55], 0xFFFFFFFFFFFFFFFF             // to restore all threads active
s_or_saveexec_b64 vcc, s[54:55]                    // all threads active
s_branch label_0148                                // done shifting


/******************************************/
/* shift d1 r=5 mb=4 vw0                  */
/******************************************/
label_0107: // r5 mb4 vw0 
s_mov_b32 s54, 16                                  // 
_v_cmpx_eq_u32 s[54:55], v4, s54                   // is thread in edge glvw region
v_and_b32 v0, 63, v[vgprSerial]                    // permute register between threads
v_lshlrev_b32 v0, 2, v0                            // permute register between threads
v_accvgpr_read_b32 v5, acc193                      // glvw 5 mb 4 tt1 0 r 0
v_accvgpr_read_b32 v6, acc130                      // glvw 5 mb 4 tt1 0 r 0
v_accvgpr_read_b32 v7, acc194                      // glvw 5 mb 4 tt1 0 r 0
v_accvgpr_read_b32 v8, acc131                      // glvw 5 mb 4 tt1 0 r 0
v_accvgpr_read_b32 v9, acc195                      // glvw 5 mb 4 tt1 0 r 0
s_nop 1                                            // v_accvgpr read vgpr after write vgpr: 2 wait states
v_accvgpr_write_b32 acc128, v5                     // 
v_accvgpr_write_b32 acc192, v6                     // 
v_accvgpr_write_b32 acc129, v7                     // 
v_accvgpr_write_b32 acc193, v8                     // 
v_accvgpr_write_b32 acc130, v9                     // 
v_accvgpr_read_b32 v5, acc209                      // glvw 5 mb 4 tt1 1 r 0
v_accvgpr_read_b32 v6, acc146                      // glvw 5 mb 4 tt1 1 r 0
v_accvgpr_read_b32 v7, acc210                      // glvw 5 mb 4 tt1 1 r 0
v_accvgpr_read_b32 v8, acc147                      // glvw 5 mb 4 tt1 1 r 0
v_accvgpr_read_b32 v9, acc211                      // glvw 5 mb 4 tt1 1 r 0
s_nop 1                                            // v_accvgpr read vgpr after write vgpr: 2 wait states
v_accvgpr_write_b32 acc144, v5                     // 
v_accvgpr_write_b32 acc208, v6                     // 
v_accvgpr_write_b32 acc145, v7                     // 
v_accvgpr_write_b32 acc209, v8                     // 
v_accvgpr_write_b32 acc146, v9                     // 
v_accvgpr_read_b32 v5, acc225                      // glvw 5 mb 4 tt1 2 r 0
v_accvgpr_read_b32 v6, acc162                      // glvw 5 mb 4 tt1 2 r 0
v_accvgpr_read_b32 v7, acc226                      // glvw 5 mb 4 tt1 2 r 0
v_accvgpr_read_b32 v8, acc163                      // glvw 5 mb 4 tt1 2 r 0
v_accvgpr_read_b32 v9, acc227                      // glvw 5 mb 4 tt1 2 r 0
s_nop 1                                            // v_accvgpr read vgpr after write vgpr: 2 wait states
v_accvgpr_write_b32 acc160, v5                     // 
v_accvgpr_write_b32 acc224, v6                     // 
v_accvgpr_write_b32 acc161, v7                     // 
v_accvgpr_write_b32 acc225, v8                     // 
v_accvgpr_write_b32 acc162, v9                     // 
v_accvgpr_read_b32 v5, acc241                      // glvw 5 mb 4 tt1 3 r 0
v_accvgpr_read_b32 v6, acc178                      // glvw 5 mb 4 tt1 3 r 0
v_accvgpr_read_b32 v7, acc242                      // glvw 5 mb 4 tt1 3 r 0
v_accvgpr_read_b32 v8, acc179                      // glvw 5 mb 4 tt1 3 r 0
v_accvgpr_read_b32 v9, acc243                      // glvw 5 mb 4 tt1 3 r 0
s_nop 1                                            // v_accvgpr read vgpr after write vgpr: 2 wait states
v_accvgpr_write_b32 acc176, v5                     // 
v_accvgpr_write_b32 acc240, v6                     // 
v_accvgpr_write_b32 acc177, v7                     // 
v_accvgpr_write_b32 acc241, v8                     // 
v_accvgpr_write_b32 acc178, v9                     // 
s_mov_b64 s[54:55], 0xFFFFFFFFFFFFFFFF             // to restore all threads active
s_or_saveexec_b64 vcc, s[54:55]                    // all threads active
s_branch label_0148                                // done shifting


/******************************************/
/* shift d1 r=5 mb=5 vw0                  */
/******************************************/
label_0109: // r5 mb5 vw0 
s_mov_b32 s54, 18                                  // 
_v_cmpx_eq_u32 s[54:55], v4, s54                   // is thread in edge glvw region
v_and_b32 v0, 63, v[vgprSerial]                    // permute register between threads
v_lshlrev_b32 v0, 2, v0                            // permute register between threads
v_accvgpr_read_b32 v5, acc197                      // glvw 5 mb 5 tt1 0 r 0
v_accvgpr_read_b32 v6, acc134                      // glvw 5 mb 5 tt1 0 r 0
v_accvgpr_read_b32 v7, acc198                      // glvw 5 mb 5 tt1 0 r 0
v_accvgpr_read_b32 v8, acc135                      // glvw 5 mb 5 tt1 0 r 0
v_accvgpr_read_b32 v9, acc199                      // glvw 5 mb 5 tt1 0 r 0
s_nop 1                                            // v_accvgpr read vgpr after write vgpr: 2 wait states
v_accvgpr_write_b32 acc132, v5                     // 
v_accvgpr_write_b32 acc196, v6                     // 
v_accvgpr_write_b32 acc133, v7                     // 
v_accvgpr_write_b32 acc197, v8                     // 
v_accvgpr_write_b32 acc134, v9                     // 
v_accvgpr_read_b32 v5, acc213                      // glvw 5 mb 5 tt1 1 r 0
v_accvgpr_read_b32 v6, acc150                      // glvw 5 mb 5 tt1 1 r 0
v_accvgpr_read_b32 v7, acc214                      // glvw 5 mb 5 tt1 1 r 0
v_accvgpr_read_b32 v8, acc151                      // glvw 5 mb 5 tt1 1 r 0
v_accvgpr_read_b32 v9, acc215                      // glvw 5 mb 5 tt1 1 r 0
s_nop 1                                            // v_accvgpr read vgpr after write vgpr: 2 wait states
v_accvgpr_write_b32 acc148, v5                     // 
v_accvgpr_write_b32 acc212, v6                     // 
v_accvgpr_write_b32 acc149, v7                     // 
v_accvgpr_write_b32 acc213, v8                     // 
v_accvgpr_write_b32 acc150, v9                     // 
v_accvgpr_read_b32 v5, acc229                      // glvw 5 mb 5 tt1 2 r 0
v_accvgpr_read_b32 v6, acc166                      // glvw 5 mb 5 tt1 2 r 0
v_accvgpr_read_b32 v7, acc230                      // glvw 5 mb 5 tt1 2 r 0
v_accvgpr_read_b32 v8, acc167                      // glvw 5 mb 5 tt1 2 r 0
v_accvgpr_read_b32 v9, acc231                      // glvw 5 mb 5 tt1 2 r 0
s_nop 1                                            // v_accvgpr read vgpr after write vgpr: 2 wait states
v_accvgpr_write_b32 acc164, v5                     // 
v_accvgpr_write_b32 acc228, v6                     // 
v_accvgpr_write_b32 acc165, v7                     // 
v_accvgpr_write_b32 acc229, v8                     // 
v_accvgpr_write_b32 acc166, v9                     // 
v_accvgpr_read_b32 v5, acc245                      // glvw 5 mb 5 tt1 3 r 0
v_accvgpr_read_b32 v6, acc182                      // glvw 5 mb 5 tt1 3 r 0
v_accvgpr_read_b32 v7, acc246                      // glvw 5 mb 5 tt1 3 r 0
v_accvgpr_read_b32 v8, acc183                      // glvw 5 mb 5 tt1 3 r 0
v_accvgpr_read_b32 v9, acc247                      // glvw 5 mb 5 tt1 3 r 0
s_nop 1                                            // v_accvgpr read vgpr after write vgpr: 2 wait states
v_accvgpr_write_b32 acc180, v5                     // 
v_accvgpr_write_b32 acc244, v6                     // 
v_accvgpr_write_b32 acc181, v7                     // 
v_accvgpr_write_b32 acc245, v8                     // 
v_accvgpr_write_b32 acc182, v9                     // 
s_mov_b64 s[54:55], 0xFFFFFFFFFFFFFFFF             // to restore all threads active
s_or_saveexec_b64 vcc, s[54:55]                    // all threads active
s_branch label_0148                                // done shifting


/******************************************/
/* shift d1 r=5 mb=6 vw0                  */
/******************************************/
label_0111: // r5 mb6 vw0 
s_mov_b32 s54, 20                                  // 
_v_cmpx_eq_u32 s[54:55], v4, s54                   // is thread in edge glvw region
v_and_b32 v0, 63, v[vgprSerial]                    // permute register between threads
v_lshlrev_b32 v0, 2, v0                            // permute register between threads
v_accvgpr_read_b32 v5, acc201                      // glvw 5 mb 6 tt1 0 r 0
v_accvgpr_read_b32 v6, acc138                      // glvw 5 mb 6 tt1 0 r 0
v_accvgpr_read_b32 v7, acc202                      // glvw 5 mb 6 tt1 0 r 0
v_accvgpr_read_b32 v8, acc139                      // glvw 5 mb 6 tt1 0 r 0
v_accvgpr_read_b32 v9, acc203                      // glvw 5 mb 6 tt1 0 r 0
s_nop 1                                            // v_accvgpr read vgpr after write vgpr: 2 wait states
v_accvgpr_write_b32 acc136, v5                     // 
v_accvgpr_write_b32 acc200, v6                     // 
v_accvgpr_write_b32 acc137, v7                     // 
v_accvgpr_write_b32 acc201, v8                     // 
v_accvgpr_write_b32 acc138, v9                     // 
v_accvgpr_read_b32 v5, acc217                      // glvw 5 mb 6 tt1 1 r 0
v_accvgpr_read_b32 v6, acc154                      // glvw 5 mb 6 tt1 1 r 0
v_accvgpr_read_b32 v7, acc218                      // glvw 5 mb 6 tt1 1 r 0
v_accvgpr_read_b32 v8, acc155                      // glvw 5 mb 6 tt1 1 r 0
v_accvgpr_read_b32 v9, acc219                      // glvw 5 mb 6 tt1 1 r 0
s_nop 1                                            // v_accvgpr read vgpr after write vgpr: 2 wait states
v_accvgpr_write_b32 acc152, v5                     // 
v_accvgpr_write_b32 acc216, v6                     // 
v_accvgpr_write_b32 acc153, v7                     // 
v_accvgpr_write_b32 acc217, v8                     // 
v_accvgpr_write_b32 acc154, v9                     // 
v_accvgpr_read_b32 v5, acc233                      // glvw 5 mb 6 tt1 2 r 0
v_accvgpr_read_b32 v6, acc170                      // glvw 5 mb 6 tt1 2 r 0
v_accvgpr_read_b32 v7, acc234                      // glvw 5 mb 6 tt1 2 r 0
v_accvgpr_read_b32 v8, acc171                      // glvw 5 mb 6 tt1 2 r 0
v_accvgpr_read_b32 v9, acc235                      // glvw 5 mb 6 tt1 2 r 0
s_nop 1                                            // v_accvgpr read vgpr after write vgpr: 2 wait states
v_accvgpr_write_b32 acc168, v5                     // 
v_accvgpr_write_b32 acc232, v6                     // 
v_accvgpr_write_b32 acc169, v7                     // 
v_accvgpr_write_b32 acc233, v8                     // 
v_accvgpr_write_b32 acc170, v9                     // 
v_accvgpr_read_b32 v5, acc249                      // glvw 5 mb 6 tt1 3 r 0
v_accvgpr_read_b32 v6, acc186                      // glvw 5 mb 6 tt1 3 r 0
v_accvgpr_read_b32 v7, acc250                      // glvw 5 mb 6 tt1 3 r 0
v_accvgpr_read_b32 v8, acc187                      // glvw 5 mb 6 tt1 3 r 0
v_accvgpr_read_b32 v9, acc251                      // glvw 5 mb 6 tt1 3 r 0
s_nop 1                                            // v_accvgpr read vgpr after write vgpr: 2 wait states
v_accvgpr_write_b32 acc184, v5                     // 
v_accvgpr_write_b32 acc248, v6                     // 
v_accvgpr_write_b32 acc185, v7                     // 
v_accvgpr_write_b32 acc249, v8                     // 
v_accvgpr_write_b32 acc186, v9                     // 
s_mov_b64 s[54:55], 0xFFFFFFFFFFFFFFFF             // to restore all threads active
s_or_saveexec_b64 vcc, s[54:55]                    // all threads active
s_branch label_0148                                // done shifting


/******************************************/
/* shift d1 r=5 mb=7 vw0                  */
/******************************************/
label_0113: // r5 mb7 vw0 
s_mov_b32 s54, 22                                  // 
_v_cmpx_eq_u32 s[54:55], v4, s54                   // is thread in edge glvw region
v_and_b32 v0, 63, v[vgprSerial]                    // permute register between threads
v_lshlrev_b32 v0, 2, v0                            // permute register between threads
v_accvgpr_read_b32 v5, acc205                      // glvw 5 mb 7 tt1 0 r 0
v_accvgpr_read_b32 v6, acc142                      // glvw 5 mb 7 tt1 0 r 0
v_accvgpr_read_b32 v7, acc206                      // glvw 5 mb 7 tt1 0 r 0
v_accvgpr_read_b32 v8, acc143                      // glvw 5 mb 7 tt1 0 r 0
v_accvgpr_read_b32 v9, acc207                      // glvw 5 mb 7 tt1 0 r 0
s_nop 1                                            // v_accvgpr read vgpr after write vgpr: 2 wait states
v_accvgpr_write_b32 acc140, v5                     // 
v_accvgpr_write_b32 acc204, v6                     // 
v_accvgpr_write_b32 acc141, v7                     // 
v_accvgpr_write_b32 acc205, v8                     // 
v_accvgpr_write_b32 acc142, v9                     // 
v_accvgpr_read_b32 v5, acc221                      // glvw 5 mb 7 tt1 1 r 0
v_accvgpr_read_b32 v6, acc158                      // glvw 5 mb 7 tt1 1 r 0
v_accvgpr_read_b32 v7, acc222                      // glvw 5 mb 7 tt1 1 r 0
v_accvgpr_read_b32 v8, acc159                      // glvw 5 mb 7 tt1 1 r 0
v_accvgpr_read_b32 v9, acc223                      // glvw 5 mb 7 tt1 1 r 0
s_nop 1                                            // v_accvgpr read vgpr after write vgpr: 2 wait states
v_accvgpr_write_b32 acc156, v5                     // 
v_accvgpr_write_b32 acc220, v6                     // 
v_accvgpr_write_b32 acc157, v7                     // 
v_accvgpr_write_b32 acc221, v8                     // 
v_accvgpr_write_b32 acc158, v9                     // 
v_accvgpr_read_b32 v5, acc237                      // glvw 5 mb 7 tt1 2 r 0
v_accvgpr_read_b32 v6, acc174                      // glvw 5 mb 7 tt1 2 r 0
v_accvgpr_read_b32 v7, acc238                      // glvw 5 mb 7 tt1 2 r 0
v_accvgpr_read_b32 v8, acc175                      // glvw 5 mb 7 tt1 2 r 0
v_accvgpr_read_b32 v9, acc239                      // glvw 5 mb 7 tt1 2 r 0
s_nop 1                                            // v_accvgpr read vgpr after write vgpr: 2 wait states
v_accvgpr_write_b32 acc172, v5                     // 
v_accvgpr_write_b32 acc236, v6                     // 
v_accvgpr_write_b32 acc173, v7                     // 
v_accvgpr_write_b32 acc237, v8                     // 
v_accvgpr_write_b32 acc174, v9                     // 
v_accvgpr_read_b32 v5, acc253                      // glvw 5 mb 7 tt1 3 r 0
v_accvgpr_read_b32 v6, acc190                      // glvw 5 mb 7 tt1 3 r 0
v_accvgpr_read_b32 v7, acc254                      // glvw 5 mb 7 tt1 3 r 0
v_accvgpr_read_b32 v8, acc191                      // glvw 5 mb 7 tt1 3 r 0
v_accvgpr_read_b32 v9, acc255                      // glvw 5 mb 7 tt1 3 r 0
s_nop 1                                            // v_accvgpr read vgpr after write vgpr: 2 wait states
v_accvgpr_write_b32 acc188, v5                     // 
v_accvgpr_write_b32 acc252, v6                     // 
v_accvgpr_write_b32 acc189, v7                     // 
v_accvgpr_write_b32 acc253, v8                     // 
v_accvgpr_write_b32 acc190, v9                     // 
s_mov_b64 s[54:55], 0xFFFFFFFFFFFFFFFF             // to restore all threads active
s_or_saveexec_b64 vcc, s[54:55]                    // all threads active
s_branch label_0148                                // done shifting


/******************************************/
/* shift d1 r=6 mb=0 vw0                  */
/******************************************/
label_0116: // r6 mb0 vw0 
s_mov_b32 s54, 0                                   // 
_v_cmpx_eq_u32 s[54:55], v4, s54                   // is thread in edge glvw region
v_and_b32 v0, 63, v[vgprSerial]                    // permute register between threads
v_lshlrev_b32 v0, 2, v0                            // permute register between threads
v_accvgpr_read_b32 v5, acc1                        // glvw 6 mb 0 tt1 0 r 0
v_accvgpr_read_b32 v6, acc65                       // glvw 6 mb 0 tt1 0 r 0
v_accvgpr_read_b32 v7, acc2                        // glvw 6 mb 0 tt1 0 r 0
v_accvgpr_read_b32 v8, acc66                       // glvw 6 mb 0 tt1 0 r 0
v_accvgpr_read_b32 v9, acc3                        // glvw 6 mb 0 tt1 0 r 0
v_accvgpr_read_b32 v10, acc67                      // glvw 6 mb 0 tt1 0 r 0
s_nop 1                                            // v_accvgpr read vgpr after write vgpr: 2 wait states
v_accvgpr_write_b32 acc0, v5                       // 
v_accvgpr_write_b32 acc64, v6                      // 
v_accvgpr_write_b32 acc1, v7                       // 
v_accvgpr_write_b32 acc65, v8                      // 
v_accvgpr_write_b32 acc2, v9                       // 
v_accvgpr_write_b32 acc66, v10                     // 
v_accvgpr_read_b32 v5, acc17                       // glvw 6 mb 0 tt1 1 r 0
v_accvgpr_read_b32 v6, acc81                       // glvw 6 mb 0 tt1 1 r 0
v_accvgpr_read_b32 v7, acc18                       // glvw 6 mb 0 tt1 1 r 0
v_accvgpr_read_b32 v8, acc82                       // glvw 6 mb 0 tt1 1 r 0
v_accvgpr_read_b32 v9, acc19                       // glvw 6 mb 0 tt1 1 r 0
v_accvgpr_read_b32 v10, acc83                      // glvw 6 mb 0 tt1 1 r 0
s_nop 1                                            // v_accvgpr read vgpr after write vgpr: 2 wait states
v_accvgpr_write_b32 acc16, v5                      // 
v_accvgpr_write_b32 acc80, v6                      // 
v_accvgpr_write_b32 acc17, v7                      // 
v_accvgpr_write_b32 acc81, v8                      // 
v_accvgpr_write_b32 acc18, v9                      // 
v_accvgpr_write_b32 acc82, v10                     // 
v_accvgpr_read_b32 v5, acc33                       // glvw 6 mb 0 tt1 2 r 0
v_accvgpr_read_b32 v6, acc97                       // glvw 6 mb 0 tt1 2 r 0
v_accvgpr_read_b32 v7, acc34                       // glvw 6 mb 0 tt1 2 r 0
v_accvgpr_read_b32 v8, acc98                       // glvw 6 mb 0 tt1 2 r 0
v_accvgpr_read_b32 v9, acc35                       // glvw 6 mb 0 tt1 2 r 0
v_accvgpr_read_b32 v10, acc99                      // glvw 6 mb 0 tt1 2 r 0
s_nop 1                                            // v_accvgpr read vgpr after write vgpr: 2 wait states
v_accvgpr_write_b32 acc32, v5                      // 
v_accvgpr_write_b32 acc96, v6                      // 
v_accvgpr_write_b32 acc33, v7                      // 
v_accvgpr_write_b32 acc97, v8                      // 
v_accvgpr_write_b32 acc34, v9                      // 
v_accvgpr_write_b32 acc98, v10                     // 
v_accvgpr_read_b32 v5, acc49                       // glvw 6 mb 0 tt1 3 r 0
v_accvgpr_read_b32 v6, acc113                      // glvw 6 mb 0 tt1 3 r 0
v_accvgpr_read_b32 v7, acc50                       // glvw 6 mb 0 tt1 3 r 0
v_accvgpr_read_b32 v8, acc114                      // glvw 6 mb 0 tt1 3 r 0
v_accvgpr_read_b32 v9, acc51                       // glvw 6 mb 0 tt1 3 r 0
v_accvgpr_read_b32 v10, acc115                     // glvw 6 mb 0 tt1 3 r 0
s_nop 1                                            // v_accvgpr read vgpr after write vgpr: 2 wait states
v_accvgpr_write_b32 acc48, v5                      // 
v_accvgpr_write_b32 acc112, v6                     // 
v_accvgpr_write_b32 acc49, v7                      // 
v_accvgpr_write_b32 acc113, v8                     // 
v_accvgpr_write_b32 acc50, v9                      // 
v_accvgpr_write_b32 acc114, v10                    // 
s_mov_b64 s[54:55], 0xFFFFFFFFFFFFFFFF             // to restore all threads active
s_or_saveexec_b64 vcc, s[54:55]                    // all threads active
s_branch label_0148                                // done shifting


/******************************************/
/* shift d1 r=6 mb=1 vw0                  */
/******************************************/
label_0118: // r6 mb1 vw0 
s_mov_b32 s54, 2                                   // 
_v_cmpx_eq_u32 s[54:55], v4, s54                   // is thread in edge glvw region
v_and_b32 v0, 63, v[vgprSerial]                    // permute register between threads
v_lshlrev_b32 v0, 2, v0                            // permute register between threads
v_accvgpr_read_b32 v5, acc5                        // glvw 6 mb 1 tt1 0 r 0
v_accvgpr_read_b32 v6, acc69                       // glvw 6 mb 1 tt1 0 r 0
v_accvgpr_read_b32 v7, acc6                        // glvw 6 mb 1 tt1 0 r 0
v_accvgpr_read_b32 v8, acc70                       // glvw 6 mb 1 tt1 0 r 0
v_accvgpr_read_b32 v9, acc7                        // glvw 6 mb 1 tt1 0 r 0
v_accvgpr_read_b32 v10, acc71                      // glvw 6 mb 1 tt1 0 r 0
s_nop 1                                            // v_accvgpr read vgpr after write vgpr: 2 wait states
v_accvgpr_write_b32 acc4, v5                       // 
v_accvgpr_write_b32 acc68, v6                      // 
v_accvgpr_write_b32 acc5, v7                       // 
v_accvgpr_write_b32 acc69, v8                      // 
v_accvgpr_write_b32 acc6, v9                       // 
v_accvgpr_write_b32 acc70, v10                     // 
v_accvgpr_read_b32 v5, acc21                       // glvw 6 mb 1 tt1 1 r 0
v_accvgpr_read_b32 v6, acc85                       // glvw 6 mb 1 tt1 1 r 0
v_accvgpr_read_b32 v7, acc22                       // glvw 6 mb 1 tt1 1 r 0
v_accvgpr_read_b32 v8, acc86                       // glvw 6 mb 1 tt1 1 r 0
v_accvgpr_read_b32 v9, acc23                       // glvw 6 mb 1 tt1 1 r 0
v_accvgpr_read_b32 v10, acc87                      // glvw 6 mb 1 tt1 1 r 0
s_nop 1                                            // v_accvgpr read vgpr after write vgpr: 2 wait states
v_accvgpr_write_b32 acc20, v5                      // 
v_accvgpr_write_b32 acc84, v6                      // 
v_accvgpr_write_b32 acc21, v7                      // 
v_accvgpr_write_b32 acc85, v8                      // 
v_accvgpr_write_b32 acc22, v9                      // 
v_accvgpr_write_b32 acc86, v10                     // 
v_accvgpr_read_b32 v5, acc37                       // glvw 6 mb 1 tt1 2 r 0
v_accvgpr_read_b32 v6, acc101                      // glvw 6 mb 1 tt1 2 r 0
v_accvgpr_read_b32 v7, acc38                       // glvw 6 mb 1 tt1 2 r 0
v_accvgpr_read_b32 v8, acc102                      // glvw 6 mb 1 tt1 2 r 0
v_accvgpr_read_b32 v9, acc39                       // glvw 6 mb 1 tt1 2 r 0
v_accvgpr_read_b32 v10, acc103                     // glvw 6 mb 1 tt1 2 r 0
s_nop 1                                            // v_accvgpr read vgpr after write vgpr: 2 wait states
v_accvgpr_write_b32 acc36, v5                      // 
v_accvgpr_write_b32 acc100, v6                     // 
v_accvgpr_write_b32 acc37, v7                      // 
v_accvgpr_write_b32 acc101, v8                     // 
v_accvgpr_write_b32 acc38, v9                      // 
v_accvgpr_write_b32 acc102, v10                    // 
v_accvgpr_read_b32 v5, acc53                       // glvw 6 mb 1 tt1 3 r 0
v_accvgpr_read_b32 v6, acc117                      // glvw 6 mb 1 tt1 3 r 0
v_accvgpr_read_b32 v7, acc54                       // glvw 6 mb 1 tt1 3 r 0
v_accvgpr_read_b32 v8, acc118                      // glvw 6 mb 1 tt1 3 r 0
v_accvgpr_read_b32 v9, acc55                       // glvw 6 mb 1 tt1 3 r 0
v_accvgpr_read_b32 v10, acc119                     // glvw 6 mb 1 tt1 3 r 0
s_nop 1                                            // v_accvgpr read vgpr after write vgpr: 2 wait states
v_accvgpr_write_b32 acc52, v5                      // 
v_accvgpr_write_b32 acc116, v6                     // 
v_accvgpr_write_b32 acc53, v7                      // 
v_accvgpr_write_b32 acc117, v8                     // 
v_accvgpr_write_b32 acc54, v9                      // 
v_accvgpr_write_b32 acc118, v10                    // 
s_mov_b64 s[54:55], 0xFFFFFFFFFFFFFFFF             // to restore all threads active
s_or_saveexec_b64 vcc, s[54:55]                    // all threads active
s_branch label_0148                                // done shifting


/******************************************/
/* shift d1 r=6 mb=2 vw0                  */
/******************************************/
label_0120: // r6 mb2 vw0 
s_mov_b32 s54, 4                                   // 
_v_cmpx_eq_u32 s[54:55], v4, s54                   // is thread in edge glvw region
v_and_b32 v0, 63, v[vgprSerial]                    // permute register between threads
v_lshlrev_b32 v0, 2, v0                            // permute register between threads
v_accvgpr_read_b32 v5, acc9                        // glvw 6 mb 2 tt1 0 r 0
v_accvgpr_read_b32 v6, acc73                       // glvw 6 mb 2 tt1 0 r 0
v_accvgpr_read_b32 v7, acc10                       // glvw 6 mb 2 tt1 0 r 0
v_accvgpr_read_b32 v8, acc74                       // glvw 6 mb 2 tt1 0 r 0
v_accvgpr_read_b32 v9, acc11                       // glvw 6 mb 2 tt1 0 r 0
v_accvgpr_read_b32 v10, acc75                      // glvw 6 mb 2 tt1 0 r 0
s_nop 1                                            // v_accvgpr read vgpr after write vgpr: 2 wait states
v_accvgpr_write_b32 acc8, v5                       // 
v_accvgpr_write_b32 acc72, v6                      // 
v_accvgpr_write_b32 acc9, v7                       // 
v_accvgpr_write_b32 acc73, v8                      // 
v_accvgpr_write_b32 acc10, v9                      // 
v_accvgpr_write_b32 acc74, v10                     // 
v_accvgpr_read_b32 v5, acc25                       // glvw 6 mb 2 tt1 1 r 0
v_accvgpr_read_b32 v6, acc89                       // glvw 6 mb 2 tt1 1 r 0
v_accvgpr_read_b32 v7, acc26                       // glvw 6 mb 2 tt1 1 r 0
v_accvgpr_read_b32 v8, acc90                       // glvw 6 mb 2 tt1 1 r 0
v_accvgpr_read_b32 v9, acc27                       // glvw 6 mb 2 tt1 1 r 0
v_accvgpr_read_b32 v10, acc91                      // glvw 6 mb 2 tt1 1 r 0
s_nop 1                                            // v_accvgpr read vgpr after write vgpr: 2 wait states
v_accvgpr_write_b32 acc24, v5                      // 
v_accvgpr_write_b32 acc88, v6                      // 
v_accvgpr_write_b32 acc25, v7                      // 
v_accvgpr_write_b32 acc89, v8                      // 
v_accvgpr_write_b32 acc26, v9                      // 
v_accvgpr_write_b32 acc90, v10                     // 
v_accvgpr_read_b32 v5, acc41                       // glvw 6 mb 2 tt1 2 r 0
v_accvgpr_read_b32 v6, acc105                      // glvw 6 mb 2 tt1 2 r 0
v_accvgpr_read_b32 v7, acc42                       // glvw 6 mb 2 tt1 2 r 0
v_accvgpr_read_b32 v8, acc106                      // glvw 6 mb 2 tt1 2 r 0
v_accvgpr_read_b32 v9, acc43                       // glvw 6 mb 2 tt1 2 r 0
v_accvgpr_read_b32 v10, acc107                     // glvw 6 mb 2 tt1 2 r 0
s_nop 1                                            // v_accvgpr read vgpr after write vgpr: 2 wait states
v_accvgpr_write_b32 acc40, v5                      // 
v_accvgpr_write_b32 acc104, v6                     // 
v_accvgpr_write_b32 acc41, v7                      // 
v_accvgpr_write_b32 acc105, v8                     // 
v_accvgpr_write_b32 acc42, v9                      // 
v_accvgpr_write_b32 acc106, v10                    // 
v_accvgpr_read_b32 v5, acc57                       // glvw 6 mb 2 tt1 3 r 0
v_accvgpr_read_b32 v6, acc121                      // glvw 6 mb 2 tt1 3 r 0
v_accvgpr_read_b32 v7, acc58                       // glvw 6 mb 2 tt1 3 r 0
v_accvgpr_read_b32 v8, acc122                      // glvw 6 mb 2 tt1 3 r 0
v_accvgpr_read_b32 v9, acc59                       // glvw 6 mb 2 tt1 3 r 0
v_accvgpr_read_b32 v10, acc123                     // glvw 6 mb 2 tt1 3 r 0
s_nop 1                                            // v_accvgpr read vgpr after write vgpr: 2 wait states
v_accvgpr_write_b32 acc56, v5                      // 
v_accvgpr_write_b32 acc120, v6                     // 
v_accvgpr_write_b32 acc57, v7                      // 
v_accvgpr_write_b32 acc121, v8                     // 
v_accvgpr_write_b32 acc58, v9                      // 
v_accvgpr_write_b32 acc122, v10                    // 
s_mov_b64 s[54:55], 0xFFFFFFFFFFFFFFFF             // to restore all threads active
s_or_saveexec_b64 vcc, s[54:55]                    // all threads active
s_branch label_0148                                // done shifting


/******************************************/
/* shift d1 r=6 mb=3 vw0                  */
/******************************************/
label_0122: // r6 mb3 vw0 
s_mov_b32 s54, 6                                   // 
_v_cmpx_eq_u32 s[54:55], v4, s54                   // is thread in edge glvw region
v_and_b32 v0, 63, v[vgprSerial]                    // permute register between threads
v_lshlrev_b32 v0, 2, v0                            // permute register between threads
v_accvgpr_read_b32 v5, acc13                       // glvw 6 mb 3 tt1 0 r 0
v_accvgpr_read_b32 v6, acc77                       // glvw 6 mb 3 tt1 0 r 0
v_accvgpr_read_b32 v7, acc14                       // glvw 6 mb 3 tt1 0 r 0
v_accvgpr_read_b32 v8, acc78                       // glvw 6 mb 3 tt1 0 r 0
v_accvgpr_read_b32 v9, acc15                       // glvw 6 mb 3 tt1 0 r 0
v_accvgpr_read_b32 v10, acc79                      // glvw 6 mb 3 tt1 0 r 0
s_nop 1                                            // v_accvgpr read vgpr after write vgpr: 2 wait states
v_accvgpr_write_b32 acc12, v5                      // 
v_accvgpr_write_b32 acc76, v6                      // 
v_accvgpr_write_b32 acc13, v7                      // 
v_accvgpr_write_b32 acc77, v8                      // 
v_accvgpr_write_b32 acc14, v9                      // 
v_accvgpr_write_b32 acc78, v10                     // 
v_accvgpr_read_b32 v5, acc29                       // glvw 6 mb 3 tt1 1 r 0
v_accvgpr_read_b32 v6, acc93                       // glvw 6 mb 3 tt1 1 r 0
v_accvgpr_read_b32 v7, acc30                       // glvw 6 mb 3 tt1 1 r 0
v_accvgpr_read_b32 v8, acc94                       // glvw 6 mb 3 tt1 1 r 0
v_accvgpr_read_b32 v9, acc31                       // glvw 6 mb 3 tt1 1 r 0
v_accvgpr_read_b32 v10, acc95                      // glvw 6 mb 3 tt1 1 r 0
s_nop 1                                            // v_accvgpr read vgpr after write vgpr: 2 wait states
v_accvgpr_write_b32 acc28, v5                      // 
v_accvgpr_write_b32 acc92, v6                      // 
v_accvgpr_write_b32 acc29, v7                      // 
v_accvgpr_write_b32 acc93, v8                      // 
v_accvgpr_write_b32 acc30, v9                      // 
v_accvgpr_write_b32 acc94, v10                     // 
v_accvgpr_read_b32 v5, acc45                       // glvw 6 mb 3 tt1 2 r 0
v_accvgpr_read_b32 v6, acc109                      // glvw 6 mb 3 tt1 2 r 0
v_accvgpr_read_b32 v7, acc46                       // glvw 6 mb 3 tt1 2 r 0
v_accvgpr_read_b32 v8, acc110                      // glvw 6 mb 3 tt1 2 r 0
v_accvgpr_read_b32 v9, acc47                       // glvw 6 mb 3 tt1 2 r 0
v_accvgpr_read_b32 v10, acc111                     // glvw 6 mb 3 tt1 2 r 0
s_nop 1                                            // v_accvgpr read vgpr after write vgpr: 2 wait states
v_accvgpr_write_b32 acc44, v5                      // 
v_accvgpr_write_b32 acc108, v6                     // 
v_accvgpr_write_b32 acc45, v7                      // 
v_accvgpr_write_b32 acc109, v8                     // 
v_accvgpr_write_b32 acc46, v9                      // 
v_accvgpr_write_b32 acc110, v10                    // 
v_accvgpr_read_b32 v5, acc61                       // glvw 6 mb 3 tt1 3 r 0
v_accvgpr_read_b32 v6, acc125                      // glvw 6 mb 3 tt1 3 r 0
v_accvgpr_read_b32 v7, acc62                       // glvw 6 mb 3 tt1 3 r 0
v_accvgpr_read_b32 v8, acc126                      // glvw 6 mb 3 tt1 3 r 0
v_accvgpr_read_b32 v9, acc63                       // glvw 6 mb 3 tt1 3 r 0
v_accvgpr_read_b32 v10, acc127                     // glvw 6 mb 3 tt1 3 r 0
s_nop 1                                            // v_accvgpr read vgpr after write vgpr: 2 wait states
v_accvgpr_write_b32 acc60, v5                      // 
v_accvgpr_write_b32 acc124, v6                     // 
v_accvgpr_write_b32 acc61, v7                      // 
v_accvgpr_write_b32 acc125, v8                     // 
v_accvgpr_write_b32 acc62, v9                      // 
v_accvgpr_write_b32 acc126, v10                    // 
s_mov_b64 s[54:55], 0xFFFFFFFFFFFFFFFF             // to restore all threads active
s_or_saveexec_b64 vcc, s[54:55]                    // all threads active
s_branch label_0148                                // done shifting


/******************************************/
/* shift d1 r=6 mb=4 vw0                  */
/******************************************/
label_0124: // r6 mb4 vw0 
s_mov_b32 s54, 16                                  // 
_v_cmpx_eq_u32 s[54:55], v4, s54                   // is thread in edge glvw region
v_and_b32 v0, 63, v[vgprSerial]                    // permute register between threads
v_lshlrev_b32 v0, 2, v0                            // permute register between threads
v_accvgpr_read_b32 v5, acc129                      // glvw 6 mb 4 tt1 0 r 0
v_accvgpr_read_b32 v6, acc193                      // glvw 6 mb 4 tt1 0 r 0
v_accvgpr_read_b32 v7, acc130                      // glvw 6 mb 4 tt1 0 r 0
v_accvgpr_read_b32 v8, acc194                      // glvw 6 mb 4 tt1 0 r 0
v_accvgpr_read_b32 v9, acc131                      // glvw 6 mb 4 tt1 0 r 0
v_accvgpr_read_b32 v10, acc195                     // glvw 6 mb 4 tt1 0 r 0
s_nop 1                                            // v_accvgpr read vgpr after write vgpr: 2 wait states
v_accvgpr_write_b32 acc128, v5                     // 
v_accvgpr_write_b32 acc192, v6                     // 
v_accvgpr_write_b32 acc129, v7                     // 
v_accvgpr_write_b32 acc193, v8                     // 
v_accvgpr_write_b32 acc130, v9                     // 
v_accvgpr_write_b32 acc194, v10                    // 
v_accvgpr_read_b32 v5, acc145                      // glvw 6 mb 4 tt1 1 r 0
v_accvgpr_read_b32 v6, acc209                      // glvw 6 mb 4 tt1 1 r 0
v_accvgpr_read_b32 v7, acc146                      // glvw 6 mb 4 tt1 1 r 0
v_accvgpr_read_b32 v8, acc210                      // glvw 6 mb 4 tt1 1 r 0
v_accvgpr_read_b32 v9, acc147                      // glvw 6 mb 4 tt1 1 r 0
v_accvgpr_read_b32 v10, acc211                     // glvw 6 mb 4 tt1 1 r 0
s_nop 1                                            // v_accvgpr read vgpr after write vgpr: 2 wait states
v_accvgpr_write_b32 acc144, v5                     // 
v_accvgpr_write_b32 acc208, v6                     // 
v_accvgpr_write_b32 acc145, v7                     // 
v_accvgpr_write_b32 acc209, v8                     // 
v_accvgpr_write_b32 acc146, v9                     // 
v_accvgpr_write_b32 acc210, v10                    // 
v_accvgpr_read_b32 v5, acc161                      // glvw 6 mb 4 tt1 2 r 0
v_accvgpr_read_b32 v6, acc225                      // glvw 6 mb 4 tt1 2 r 0
v_accvgpr_read_b32 v7, acc162                      // glvw 6 mb 4 tt1 2 r 0
v_accvgpr_read_b32 v8, acc226                      // glvw 6 mb 4 tt1 2 r 0
v_accvgpr_read_b32 v9, acc163                      // glvw 6 mb 4 tt1 2 r 0
v_accvgpr_read_b32 v10, acc227                     // glvw 6 mb 4 tt1 2 r 0
s_nop 1                                            // v_accvgpr read vgpr after write vgpr: 2 wait states
v_accvgpr_write_b32 acc160, v5                     // 
v_accvgpr_write_b32 acc224, v6                     // 
v_accvgpr_write_b32 acc161, v7                     // 
v_accvgpr_write_b32 acc225, v8                     // 
v_accvgpr_write_b32 acc162, v9                     // 
v_accvgpr_write_b32 acc226, v10                    // 
v_accvgpr_read_b32 v5, acc177                      // glvw 6 mb 4 tt1 3 r 0
v_accvgpr_read_b32 v6, acc241                      // glvw 6 mb 4 tt1 3 r 0
v_accvgpr_read_b32 v7, acc178                      // glvw 6 mb 4 tt1 3 r 0
v_accvgpr_read_b32 v8, acc242                      // glvw 6 mb 4 tt1 3 r 0
v_accvgpr_read_b32 v9, acc179                      // glvw 6 mb 4 tt1 3 r 0
v_accvgpr_read_b32 v10, acc243                     // glvw 6 mb 4 tt1 3 r 0
s_nop 1                                            // v_accvgpr read vgpr after write vgpr: 2 wait states
v_accvgpr_write_b32 acc176, v5                     // 
v_accvgpr_write_b32 acc240, v6                     // 
v_accvgpr_write_b32 acc177, v7                     // 
v_accvgpr_write_b32 acc241, v8                     // 
v_accvgpr_write_b32 acc178, v9                     // 
v_accvgpr_write_b32 acc242, v10                    // 
s_mov_b64 s[54:55], 0xFFFFFFFFFFFFFFFF             // to restore all threads active
s_or_saveexec_b64 vcc, s[54:55]                    // all threads active
s_branch label_0148                                // done shifting


/******************************************/
/* shift d1 r=6 mb=5 vw0                  */
/******************************************/
label_0126: // r6 mb5 vw0 
s_mov_b32 s54, 18                                  // 
_v_cmpx_eq_u32 s[54:55], v4, s54                   // is thread in edge glvw region
v_and_b32 v0, 63, v[vgprSerial]                    // permute register between threads
v_lshlrev_b32 v0, 2, v0                            // permute register between threads
v_accvgpr_read_b32 v5, acc133                      // glvw 6 mb 5 tt1 0 r 0
v_accvgpr_read_b32 v6, acc197                      // glvw 6 mb 5 tt1 0 r 0
v_accvgpr_read_b32 v7, acc134                      // glvw 6 mb 5 tt1 0 r 0
v_accvgpr_read_b32 v8, acc198                      // glvw 6 mb 5 tt1 0 r 0
v_accvgpr_read_b32 v9, acc135                      // glvw 6 mb 5 tt1 0 r 0
v_accvgpr_read_b32 v10, acc199                     // glvw 6 mb 5 tt1 0 r 0
s_nop 1                                            // v_accvgpr read vgpr after write vgpr: 2 wait states
v_accvgpr_write_b32 acc132, v5                     // 
v_accvgpr_write_b32 acc196, v6                     // 
v_accvgpr_write_b32 acc133, v7                     // 
v_accvgpr_write_b32 acc197, v8                     // 
v_accvgpr_write_b32 acc134, v9                     // 
v_accvgpr_write_b32 acc198, v10                    // 
v_accvgpr_read_b32 v5, acc149                      // glvw 6 mb 5 tt1 1 r 0
v_accvgpr_read_b32 v6, acc213                      // glvw 6 mb 5 tt1 1 r 0
v_accvgpr_read_b32 v7, acc150                      // glvw 6 mb 5 tt1 1 r 0
v_accvgpr_read_b32 v8, acc214                      // glvw 6 mb 5 tt1 1 r 0
v_accvgpr_read_b32 v9, acc151                      // glvw 6 mb 5 tt1 1 r 0
v_accvgpr_read_b32 v10, acc215                     // glvw 6 mb 5 tt1 1 r 0
s_nop 1                                            // v_accvgpr read vgpr after write vgpr: 2 wait states
v_accvgpr_write_b32 acc148, v5                     // 
v_accvgpr_write_b32 acc212, v6                     // 
v_accvgpr_write_b32 acc149, v7                     // 
v_accvgpr_write_b32 acc213, v8                     // 
v_accvgpr_write_b32 acc150, v9                     // 
v_accvgpr_write_b32 acc214, v10                    // 
v_accvgpr_read_b32 v5, acc165                      // glvw 6 mb 5 tt1 2 r 0
v_accvgpr_read_b32 v6, acc229                      // glvw 6 mb 5 tt1 2 r 0
v_accvgpr_read_b32 v7, acc166                      // glvw 6 mb 5 tt1 2 r 0
v_accvgpr_read_b32 v8, acc230                      // glvw 6 mb 5 tt1 2 r 0
v_accvgpr_read_b32 v9, acc167                      // glvw 6 mb 5 tt1 2 r 0
v_accvgpr_read_b32 v10, acc231                     // glvw 6 mb 5 tt1 2 r 0
s_nop 1                                            // v_accvgpr read vgpr after write vgpr: 2 wait states
v_accvgpr_write_b32 acc164, v5                     // 
v_accvgpr_write_b32 acc228, v6                     // 
v_accvgpr_write_b32 acc165, v7                     // 
v_accvgpr_write_b32 acc229, v8                     // 
v_accvgpr_write_b32 acc166, v9                     // 
v_accvgpr_write_b32 acc230, v10                    // 
v_accvgpr_read_b32 v5, acc181                      // glvw 6 mb 5 tt1 3 r 0
v_accvgpr_read_b32 v6, acc245                      // glvw 6 mb 5 tt1 3 r 0
v_accvgpr_read_b32 v7, acc182                      // glvw 6 mb 5 tt1 3 r 0
v_accvgpr_read_b32 v8, acc246                      // glvw 6 mb 5 tt1 3 r 0
v_accvgpr_read_b32 v9, acc183                      // glvw 6 mb 5 tt1 3 r 0
v_accvgpr_read_b32 v10, acc247                     // glvw 6 mb 5 tt1 3 r 0
s_nop 1                                            // v_accvgpr read vgpr after write vgpr: 2 wait states
v_accvgpr_write_b32 acc180, v5                     // 
v_accvgpr_write_b32 acc244, v6                     // 
v_accvgpr_write_b32 acc181, v7                     // 
v_accvgpr_write_b32 acc245, v8                     // 
v_accvgpr_write_b32 acc182, v9                     // 
v_accvgpr_write_b32 acc246, v10                    // 
s_mov_b64 s[54:55], 0xFFFFFFFFFFFFFFFF             // to restore all threads active
s_or_saveexec_b64 vcc, s[54:55]                    // all threads active
s_branch label_0148                                // done shifting


/******************************************/
/* shift d1 r=6 mb=6 vw0                  */
/******************************************/
label_0128: // r6 mb6 vw0 
s_mov_b32 s54, 20                                  // 
_v_cmpx_eq_u32 s[54:55], v4, s54                   // is thread in edge glvw region
v_and_b32 v0, 63, v[vgprSerial]                    // permute register between threads
v_lshlrev_b32 v0, 2, v0                            // permute register between threads
v_accvgpr_read_b32 v5, acc137                      // glvw 6 mb 6 tt1 0 r 0
v_accvgpr_read_b32 v6, acc201                      // glvw 6 mb 6 tt1 0 r 0
v_accvgpr_read_b32 v7, acc138                      // glvw 6 mb 6 tt1 0 r 0
v_accvgpr_read_b32 v8, acc202                      // glvw 6 mb 6 tt1 0 r 0
v_accvgpr_read_b32 v9, acc139                      // glvw 6 mb 6 tt1 0 r 0
v_accvgpr_read_b32 v10, acc203                     // glvw 6 mb 6 tt1 0 r 0
s_nop 1                                            // v_accvgpr read vgpr after write vgpr: 2 wait states
v_accvgpr_write_b32 acc136, v5                     // 
v_accvgpr_write_b32 acc200, v6                     // 
v_accvgpr_write_b32 acc137, v7                     // 
v_accvgpr_write_b32 acc201, v8                     // 
v_accvgpr_write_b32 acc138, v9                     // 
v_accvgpr_write_b32 acc202, v10                    // 
v_accvgpr_read_b32 v5, acc153                      // glvw 6 mb 6 tt1 1 r 0
v_accvgpr_read_b32 v6, acc217                      // glvw 6 mb 6 tt1 1 r 0
v_accvgpr_read_b32 v7, acc154                      // glvw 6 mb 6 tt1 1 r 0
v_accvgpr_read_b32 v8, acc218                      // glvw 6 mb 6 tt1 1 r 0
v_accvgpr_read_b32 v9, acc155                      // glvw 6 mb 6 tt1 1 r 0
v_accvgpr_read_b32 v10, acc219                     // glvw 6 mb 6 tt1 1 r 0
s_nop 1                                            // v_accvgpr read vgpr after write vgpr: 2 wait states
v_accvgpr_write_b32 acc152, v5                     // 
v_accvgpr_write_b32 acc216, v6                     // 
v_accvgpr_write_b32 acc153, v7                     // 
v_accvgpr_write_b32 acc217, v8                     // 
v_accvgpr_write_b32 acc154, v9                     // 
v_accvgpr_write_b32 acc218, v10                    // 
v_accvgpr_read_b32 v5, acc169                      // glvw 6 mb 6 tt1 2 r 0
v_accvgpr_read_b32 v6, acc233                      // glvw 6 mb 6 tt1 2 r 0
v_accvgpr_read_b32 v7, acc170                      // glvw 6 mb 6 tt1 2 r 0
v_accvgpr_read_b32 v8, acc234                      // glvw 6 mb 6 tt1 2 r 0
v_accvgpr_read_b32 v9, acc171                      // glvw 6 mb 6 tt1 2 r 0
v_accvgpr_read_b32 v10, acc235                     // glvw 6 mb 6 tt1 2 r 0
s_nop 1                                            // v_accvgpr read vgpr after write vgpr: 2 wait states
v_accvgpr_write_b32 acc168, v5                     // 
v_accvgpr_write_b32 acc232, v6                     // 
v_accvgpr_write_b32 acc169, v7                     // 
v_accvgpr_write_b32 acc233, v8                     // 
v_accvgpr_write_b32 acc170, v9                     // 
v_accvgpr_write_b32 acc234, v10                    // 
v_accvgpr_read_b32 v5, acc185                      // glvw 6 mb 6 tt1 3 r 0
v_accvgpr_read_b32 v6, acc249                      // glvw 6 mb 6 tt1 3 r 0
v_accvgpr_read_b32 v7, acc186                      // glvw 6 mb 6 tt1 3 r 0
v_accvgpr_read_b32 v8, acc250                      // glvw 6 mb 6 tt1 3 r 0
v_accvgpr_read_b32 v9, acc187                      // glvw 6 mb 6 tt1 3 r 0
v_accvgpr_read_b32 v10, acc251                     // glvw 6 mb 6 tt1 3 r 0
s_nop 1                                            // v_accvgpr read vgpr after write vgpr: 2 wait states
v_accvgpr_write_b32 acc184, v5                     // 
v_accvgpr_write_b32 acc248, v6                     // 
v_accvgpr_write_b32 acc185, v7                     // 
v_accvgpr_write_b32 acc249, v8                     // 
v_accvgpr_write_b32 acc186, v9                     // 
v_accvgpr_write_b32 acc250, v10                    // 
s_mov_b64 s[54:55], 0xFFFFFFFFFFFFFFFF             // to restore all threads active
s_or_saveexec_b64 vcc, s[54:55]                    // all threads active
s_branch label_0148                                // done shifting


/******************************************/
/* shift d1 r=6 mb=7 vw0                  */
/******************************************/
label_0130: // r6 mb7 vw0 
s_mov_b32 s54, 22                                  // 
_v_cmpx_eq_u32 s[54:55], v4, s54                   // is thread in edge glvw region
v_and_b32 v0, 63, v[vgprSerial]                    // permute register between threads
v_lshlrev_b32 v0, 2, v0                            // permute register between threads
v_accvgpr_read_b32 v5, acc141                      // glvw 6 mb 7 tt1 0 r 0
v_accvgpr_read_b32 v6, acc205                      // glvw 6 mb 7 tt1 0 r 0
v_accvgpr_read_b32 v7, acc142                      // glvw 6 mb 7 tt1 0 r 0
v_accvgpr_read_b32 v8, acc206                      // glvw 6 mb 7 tt1 0 r 0
v_accvgpr_read_b32 v9, acc143                      // glvw 6 mb 7 tt1 0 r 0
v_accvgpr_read_b32 v10, acc207                     // glvw 6 mb 7 tt1 0 r 0
s_nop 1                                            // v_accvgpr read vgpr after write vgpr: 2 wait states
v_accvgpr_write_b32 acc140, v5                     // 
v_accvgpr_write_b32 acc204, v6                     // 
v_accvgpr_write_b32 acc141, v7                     // 
v_accvgpr_write_b32 acc205, v8                     // 
v_accvgpr_write_b32 acc142, v9                     // 
v_accvgpr_write_b32 acc206, v10                    // 
v_accvgpr_read_b32 v5, acc157                      // glvw 6 mb 7 tt1 1 r 0
v_accvgpr_read_b32 v6, acc221                      // glvw 6 mb 7 tt1 1 r 0
v_accvgpr_read_b32 v7, acc158                      // glvw 6 mb 7 tt1 1 r 0
v_accvgpr_read_b32 v8, acc222                      // glvw 6 mb 7 tt1 1 r 0
v_accvgpr_read_b32 v9, acc159                      // glvw 6 mb 7 tt1 1 r 0
v_accvgpr_read_b32 v10, acc223                     // glvw 6 mb 7 tt1 1 r 0
s_nop 1                                            // v_accvgpr read vgpr after write vgpr: 2 wait states
v_accvgpr_write_b32 acc156, v5                     // 
v_accvgpr_write_b32 acc220, v6                     // 
v_accvgpr_write_b32 acc157, v7                     // 
v_accvgpr_write_b32 acc221, v8                     // 
v_accvgpr_write_b32 acc158, v9                     // 
v_accvgpr_write_b32 acc222, v10                    // 
v_accvgpr_read_b32 v5, acc173                      // glvw 6 mb 7 tt1 2 r 0
v_accvgpr_read_b32 v6, acc237                      // glvw 6 mb 7 tt1 2 r 0
v_accvgpr_read_b32 v7, acc174                      // glvw 6 mb 7 tt1 2 r 0
v_accvgpr_read_b32 v8, acc238                      // glvw 6 mb 7 tt1 2 r 0
v_accvgpr_read_b32 v9, acc175                      // glvw 6 mb 7 tt1 2 r 0
v_accvgpr_read_b32 v10, acc239                     // glvw 6 mb 7 tt1 2 r 0
s_nop 1                                            // v_accvgpr read vgpr after write vgpr: 2 wait states
v_accvgpr_write_b32 acc172, v5                     // 
v_accvgpr_write_b32 acc236, v6                     // 
v_accvgpr_write_b32 acc173, v7                     // 
v_accvgpr_write_b32 acc237, v8                     // 
v_accvgpr_write_b32 acc174, v9                     // 
v_accvgpr_write_b32 acc238, v10                    // 
v_accvgpr_read_b32 v5, acc189                      // glvw 6 mb 7 tt1 3 r 0
v_accvgpr_read_b32 v6, acc253                      // glvw 6 mb 7 tt1 3 r 0
v_accvgpr_read_b32 v7, acc190                      // glvw 6 mb 7 tt1 3 r 0
v_accvgpr_read_b32 v8, acc254                      // glvw 6 mb 7 tt1 3 r 0
v_accvgpr_read_b32 v9, acc191                      // glvw 6 mb 7 tt1 3 r 0
v_accvgpr_read_b32 v10, acc255                     // glvw 6 mb 7 tt1 3 r 0
s_nop 1                                            // v_accvgpr read vgpr after write vgpr: 2 wait states
v_accvgpr_write_b32 acc188, v5                     // 
v_accvgpr_write_b32 acc252, v6                     // 
v_accvgpr_write_b32 acc189, v7                     // 
v_accvgpr_write_b32 acc253, v8                     // 
v_accvgpr_write_b32 acc190, v9                     // 
v_accvgpr_write_b32 acc254, v10                    // 
s_mov_b64 s[54:55], 0xFFFFFFFFFFFFFFFF             // to restore all threads active
s_or_saveexec_b64 vcc, s[54:55]                    // all threads active
s_branch label_0148                                // done shifting


/******************************************/
/* shift d1 r=7 mb=0 vw0                  */
/******************************************/
label_0133: // r7 mb0 vw0 
s_mov_b32 s54, 0                                   // 
_v_cmpx_eq_u32 s[54:55], v4, s54                   // is thread in edge glvw region
v_and_b32 v0, 63, v[vgprSerial]                    // permute register between threads
v_lshlrev_b32 v0, 2, v0                            // permute register between threads
v_accvgpr_read_b32 v5, acc64                       // glvw 7 mb 0 tt1 0 r 0
v_accvgpr_read_b32 v6, acc1                        // glvw 7 mb 0 tt1 0 r 0
v_accvgpr_read_b32 v7, acc65                       // glvw 7 mb 0 tt1 0 r 0
v_accvgpr_read_b32 v8, acc2                        // glvw 7 mb 0 tt1 0 r 0
v_accvgpr_read_b32 v9, acc66                       // glvw 7 mb 0 tt1 0 r 0
v_accvgpr_read_b32 v10, acc3                       // glvw 7 mb 0 tt1 0 r 0
v_accvgpr_read_b32 v11, acc67                      // glvw 7 mb 0 tt1 0 r 0
s_nop 1                                            // v_accvgpr read vgpr after write vgpr: 2 wait states
v_accvgpr_write_b32 acc0, v5                       // 
v_accvgpr_write_b32 acc64, v6                      // 
v_accvgpr_write_b32 acc1, v7                       // 
v_accvgpr_write_b32 acc65, v8                      // 
v_accvgpr_write_b32 acc2, v9                       // 
v_accvgpr_write_b32 acc66, v10                     // 
v_accvgpr_write_b32 acc3, v11                      // 
v_accvgpr_read_b32 v5, acc80                       // glvw 7 mb 0 tt1 1 r 0
v_accvgpr_read_b32 v6, acc17                       // glvw 7 mb 0 tt1 1 r 0
v_accvgpr_read_b32 v7, acc81                       // glvw 7 mb 0 tt1 1 r 0
v_accvgpr_read_b32 v8, acc18                       // glvw 7 mb 0 tt1 1 r 0
v_accvgpr_read_b32 v9, acc82                       // glvw 7 mb 0 tt1 1 r 0
v_accvgpr_read_b32 v10, acc19                      // glvw 7 mb 0 tt1 1 r 0
v_accvgpr_read_b32 v11, acc83                      // glvw 7 mb 0 tt1 1 r 0
s_nop 1                                            // v_accvgpr read vgpr after write vgpr: 2 wait states
v_accvgpr_write_b32 acc16, v5                      // 
v_accvgpr_write_b32 acc80, v6                      // 
v_accvgpr_write_b32 acc17, v7                      // 
v_accvgpr_write_b32 acc81, v8                      // 
v_accvgpr_write_b32 acc18, v9                      // 
v_accvgpr_write_b32 acc82, v10                     // 
v_accvgpr_write_b32 acc19, v11                     // 
v_accvgpr_read_b32 v5, acc96                       // glvw 7 mb 0 tt1 2 r 0
v_accvgpr_read_b32 v6, acc33                       // glvw 7 mb 0 tt1 2 r 0
v_accvgpr_read_b32 v7, acc97                       // glvw 7 mb 0 tt1 2 r 0
v_accvgpr_read_b32 v8, acc34                       // glvw 7 mb 0 tt1 2 r 0
v_accvgpr_read_b32 v9, acc98                       // glvw 7 mb 0 tt1 2 r 0
v_accvgpr_read_b32 v10, acc35                      // glvw 7 mb 0 tt1 2 r 0
v_accvgpr_read_b32 v11, acc99                      // glvw 7 mb 0 tt1 2 r 0
s_nop 1                                            // v_accvgpr read vgpr after write vgpr: 2 wait states
v_accvgpr_write_b32 acc32, v5                      // 
v_accvgpr_write_b32 acc96, v6                      // 
v_accvgpr_write_b32 acc33, v7                      // 
v_accvgpr_write_b32 acc97, v8                      // 
v_accvgpr_write_b32 acc34, v9                      // 
v_accvgpr_write_b32 acc98, v10                     // 
v_accvgpr_write_b32 acc35, v11                     // 
v_accvgpr_read_b32 v5, acc112                      // glvw 7 mb 0 tt1 3 r 0
v_accvgpr_read_b32 v6, acc49                       // glvw 7 mb 0 tt1 3 r 0
v_accvgpr_read_b32 v7, acc113                      // glvw 7 mb 0 tt1 3 r 0
v_accvgpr_read_b32 v8, acc50                       // glvw 7 mb 0 tt1 3 r 0
v_accvgpr_read_b32 v9, acc114                      // glvw 7 mb 0 tt1 3 r 0
v_accvgpr_read_b32 v10, acc51                      // glvw 7 mb 0 tt1 3 r 0
v_accvgpr_read_b32 v11, acc115                     // glvw 7 mb 0 tt1 3 r 0
s_nop 1                                            // v_accvgpr read vgpr after write vgpr: 2 wait states
v_accvgpr_write_b32 acc48, v5                      // 
v_accvgpr_write_b32 acc112, v6                     // 
v_accvgpr_write_b32 acc49, v7                      // 
v_accvgpr_write_b32 acc113, v8                     // 
v_accvgpr_write_b32 acc50, v9                      // 
v_accvgpr_write_b32 acc114, v10                    // 
v_accvgpr_write_b32 acc51, v11                     // 
s_mov_b64 s[54:55], 0xFFFFFFFFFFFFFFFF             // to restore all threads active
s_or_saveexec_b64 vcc, s[54:55]                    // all threads active
s_branch label_0148                                // done shifting


/******************************************/
/* shift d1 r=7 mb=1 vw0                  */
/******************************************/
label_0135: // r7 mb1 vw0 
s_mov_b32 s54, 2                                   // 
_v_cmpx_eq_u32 s[54:55], v4, s54                   // is thread in edge glvw region
v_and_b32 v0, 63, v[vgprSerial]                    // permute register between threads
v_lshlrev_b32 v0, 2, v0                            // permute register between threads
v_accvgpr_read_b32 v5, acc68                       // glvw 7 mb 1 tt1 0 r 0
v_accvgpr_read_b32 v6, acc5                        // glvw 7 mb 1 tt1 0 r 0
v_accvgpr_read_b32 v7, acc69                       // glvw 7 mb 1 tt1 0 r 0
v_accvgpr_read_b32 v8, acc6                        // glvw 7 mb 1 tt1 0 r 0
v_accvgpr_read_b32 v9, acc70                       // glvw 7 mb 1 tt1 0 r 0
v_accvgpr_read_b32 v10, acc7                       // glvw 7 mb 1 tt1 0 r 0
v_accvgpr_read_b32 v11, acc71                      // glvw 7 mb 1 tt1 0 r 0
s_nop 1                                            // v_accvgpr read vgpr after write vgpr: 2 wait states
v_accvgpr_write_b32 acc4, v5                       // 
v_accvgpr_write_b32 acc68, v6                      // 
v_accvgpr_write_b32 acc5, v7                       // 
v_accvgpr_write_b32 acc69, v8                      // 
v_accvgpr_write_b32 acc6, v9                       // 
v_accvgpr_write_b32 acc70, v10                     // 
v_accvgpr_write_b32 acc7, v11                      // 
v_accvgpr_read_b32 v5, acc84                       // glvw 7 mb 1 tt1 1 r 0
v_accvgpr_read_b32 v6, acc21                       // glvw 7 mb 1 tt1 1 r 0
v_accvgpr_read_b32 v7, acc85                       // glvw 7 mb 1 tt1 1 r 0
v_accvgpr_read_b32 v8, acc22                       // glvw 7 mb 1 tt1 1 r 0
v_accvgpr_read_b32 v9, acc86                       // glvw 7 mb 1 tt1 1 r 0
v_accvgpr_read_b32 v10, acc23                      // glvw 7 mb 1 tt1 1 r 0
v_accvgpr_read_b32 v11, acc87                      // glvw 7 mb 1 tt1 1 r 0
s_nop 1                                            // v_accvgpr read vgpr after write vgpr: 2 wait states
v_accvgpr_write_b32 acc20, v5                      // 
v_accvgpr_write_b32 acc84, v6                      // 
v_accvgpr_write_b32 acc21, v7                      // 
v_accvgpr_write_b32 acc85, v8                      // 
v_accvgpr_write_b32 acc22, v9                      // 
v_accvgpr_write_b32 acc86, v10                     // 
v_accvgpr_write_b32 acc23, v11                     // 
v_accvgpr_read_b32 v5, acc100                      // glvw 7 mb 1 tt1 2 r 0
v_accvgpr_read_b32 v6, acc37                       // glvw 7 mb 1 tt1 2 r 0
v_accvgpr_read_b32 v7, acc101                      // glvw 7 mb 1 tt1 2 r 0
v_accvgpr_read_b32 v8, acc38                       // glvw 7 mb 1 tt1 2 r 0
v_accvgpr_read_b32 v9, acc102                      // glvw 7 mb 1 tt1 2 r 0
v_accvgpr_read_b32 v10, acc39                      // glvw 7 mb 1 tt1 2 r 0
v_accvgpr_read_b32 v11, acc103                     // glvw 7 mb 1 tt1 2 r 0
s_nop 1                                            // v_accvgpr read vgpr after write vgpr: 2 wait states
v_accvgpr_write_b32 acc36, v5                      // 
v_accvgpr_write_b32 acc100, v6                     // 
v_accvgpr_write_b32 acc37, v7                      // 
v_accvgpr_write_b32 acc101, v8                     // 
v_accvgpr_write_b32 acc38, v9                      // 
v_accvgpr_write_b32 acc102, v10                    // 
v_accvgpr_write_b32 acc39, v11                     // 
v_accvgpr_read_b32 v5, acc116                      // glvw 7 mb 1 tt1 3 r 0
v_accvgpr_read_b32 v6, acc53                       // glvw 7 mb 1 tt1 3 r 0
v_accvgpr_read_b32 v7, acc117                      // glvw 7 mb 1 tt1 3 r 0
v_accvgpr_read_b32 v8, acc54                       // glvw 7 mb 1 tt1 3 r 0
v_accvgpr_read_b32 v9, acc118                      // glvw 7 mb 1 tt1 3 r 0
v_accvgpr_read_b32 v10, acc55                      // glvw 7 mb 1 tt1 3 r 0
v_accvgpr_read_b32 v11, acc119                     // glvw 7 mb 1 tt1 3 r 0
s_nop 1                                            // v_accvgpr read vgpr after write vgpr: 2 wait states
v_accvgpr_write_b32 acc52, v5                      // 
v_accvgpr_write_b32 acc116, v6                     // 
v_accvgpr_write_b32 acc53, v7                      // 
v_accvgpr_write_b32 acc117, v8                     // 
v_accvgpr_write_b32 acc54, v9                      // 
v_accvgpr_write_b32 acc118, v10                    // 
v_accvgpr_write_b32 acc55, v11                     // 
s_mov_b64 s[54:55], 0xFFFFFFFFFFFFFFFF             // to restore all threads active
s_or_saveexec_b64 vcc, s[54:55]                    // all threads active
s_branch label_0148                                // done shifting


/******************************************/
/* shift d1 r=7 mb=2 vw0                  */
/******************************************/
label_0137: // r7 mb2 vw0 
s_mov_b32 s54, 4                                   // 
_v_cmpx_eq_u32 s[54:55], v4, s54                   // is thread in edge glvw region
v_and_b32 v0, 63, v[vgprSerial]                    // permute register between threads
v_lshlrev_b32 v0, 2, v0                            // permute register between threads
v_accvgpr_read_b32 v5, acc72                       // glvw 7 mb 2 tt1 0 r 0
v_accvgpr_read_b32 v6, acc9                        // glvw 7 mb 2 tt1 0 r 0
v_accvgpr_read_b32 v7, acc73                       // glvw 7 mb 2 tt1 0 r 0
v_accvgpr_read_b32 v8, acc10                       // glvw 7 mb 2 tt1 0 r 0
v_accvgpr_read_b32 v9, acc74                       // glvw 7 mb 2 tt1 0 r 0
v_accvgpr_read_b32 v10, acc11                      // glvw 7 mb 2 tt1 0 r 0
v_accvgpr_read_b32 v11, acc75                      // glvw 7 mb 2 tt1 0 r 0
s_nop 1                                            // v_accvgpr read vgpr after write vgpr: 2 wait states
v_accvgpr_write_b32 acc8, v5                       // 
v_accvgpr_write_b32 acc72, v6                      // 
v_accvgpr_write_b32 acc9, v7                       // 
v_accvgpr_write_b32 acc73, v8                      // 
v_accvgpr_write_b32 acc10, v9                      // 
v_accvgpr_write_b32 acc74, v10                     // 
v_accvgpr_write_b32 acc11, v11                     // 
v_accvgpr_read_b32 v5, acc88                       // glvw 7 mb 2 tt1 1 r 0
v_accvgpr_read_b32 v6, acc25                       // glvw 7 mb 2 tt1 1 r 0
v_accvgpr_read_b32 v7, acc89                       // glvw 7 mb 2 tt1 1 r 0
v_accvgpr_read_b32 v8, acc26                       // glvw 7 mb 2 tt1 1 r 0
v_accvgpr_read_b32 v9, acc90                       // glvw 7 mb 2 tt1 1 r 0
v_accvgpr_read_b32 v10, acc27                      // glvw 7 mb 2 tt1 1 r 0
v_accvgpr_read_b32 v11, acc91                      // glvw 7 mb 2 tt1 1 r 0
s_nop 1                                            // v_accvgpr read vgpr after write vgpr: 2 wait states
v_accvgpr_write_b32 acc24, v5                      // 
v_accvgpr_write_b32 acc88, v6                      // 
v_accvgpr_write_b32 acc25, v7                      // 
v_accvgpr_write_b32 acc89, v8                      // 
v_accvgpr_write_b32 acc26, v9                      // 
v_accvgpr_write_b32 acc90, v10                     // 
v_accvgpr_write_b32 acc27, v11                     // 
v_accvgpr_read_b32 v5, acc104                      // glvw 7 mb 2 tt1 2 r 0
v_accvgpr_read_b32 v6, acc41                       // glvw 7 mb 2 tt1 2 r 0
v_accvgpr_read_b32 v7, acc105                      // glvw 7 mb 2 tt1 2 r 0
v_accvgpr_read_b32 v8, acc42                       // glvw 7 mb 2 tt1 2 r 0
v_accvgpr_read_b32 v9, acc106                      // glvw 7 mb 2 tt1 2 r 0
v_accvgpr_read_b32 v10, acc43                      // glvw 7 mb 2 tt1 2 r 0
v_accvgpr_read_b32 v11, acc107                     // glvw 7 mb 2 tt1 2 r 0
s_nop 1                                            // v_accvgpr read vgpr after write vgpr: 2 wait states
v_accvgpr_write_b32 acc40, v5                      // 
v_accvgpr_write_b32 acc104, v6                     // 
v_accvgpr_write_b32 acc41, v7                      // 
v_accvgpr_write_b32 acc105, v8                     // 
v_accvgpr_write_b32 acc42, v9                      // 
v_accvgpr_write_b32 acc106, v10                    // 
v_accvgpr_write_b32 acc43, v11                     // 
v_accvgpr_read_b32 v5, acc120                      // glvw 7 mb 2 tt1 3 r 0
v_accvgpr_read_b32 v6, acc57                       // glvw 7 mb 2 tt1 3 r 0
v_accvgpr_read_b32 v7, acc121                      // glvw 7 mb 2 tt1 3 r 0
v_accvgpr_read_b32 v8, acc58                       // glvw 7 mb 2 tt1 3 r 0
v_accvgpr_read_b32 v9, acc122                      // glvw 7 mb 2 tt1 3 r 0
v_accvgpr_read_b32 v10, acc59                      // glvw 7 mb 2 tt1 3 r 0
v_accvgpr_read_b32 v11, acc123                     // glvw 7 mb 2 tt1 3 r 0
s_nop 1                                            // v_accvgpr read vgpr after write vgpr: 2 wait states
v_accvgpr_write_b32 acc56, v5                      // 
v_accvgpr_write_b32 acc120, v6                     // 
v_accvgpr_write_b32 acc57, v7                      // 
v_accvgpr_write_b32 acc121, v8                     // 
v_accvgpr_write_b32 acc58, v9                      // 
v_accvgpr_write_b32 acc122, v10                    // 
v_accvgpr_write_b32 acc59, v11                     // 
s_mov_b64 s[54:55], 0xFFFFFFFFFFFFFFFF             // to restore all threads active
s_or_saveexec_b64 vcc, s[54:55]                    // all threads active
s_branch label_0148                                // done shifting


/******************************************/
/* shift d1 r=7 mb=3 vw0                  */
/******************************************/
label_0139: // r7 mb3 vw0 
s_mov_b32 s54, 6                                   // 
_v_cmpx_eq_u32 s[54:55], v4, s54                   // is thread in edge glvw region
v_and_b32 v0, 63, v[vgprSerial]                    // permute register between threads
v_lshlrev_b32 v0, 2, v0                            // permute register between threads
v_accvgpr_read_b32 v5, acc76                       // glvw 7 mb 3 tt1 0 r 0
v_accvgpr_read_b32 v6, acc13                       // glvw 7 mb 3 tt1 0 r 0
v_accvgpr_read_b32 v7, acc77                       // glvw 7 mb 3 tt1 0 r 0
v_accvgpr_read_b32 v8, acc14                       // glvw 7 mb 3 tt1 0 r 0
v_accvgpr_read_b32 v9, acc78                       // glvw 7 mb 3 tt1 0 r 0
v_accvgpr_read_b32 v10, acc15                      // glvw 7 mb 3 tt1 0 r 0
v_accvgpr_read_b32 v11, acc79                      // glvw 7 mb 3 tt1 0 r 0
s_nop 1                                            // v_accvgpr read vgpr after write vgpr: 2 wait states
v_accvgpr_write_b32 acc12, v5                      // 
v_accvgpr_write_b32 acc76, v6                      // 
v_accvgpr_write_b32 acc13, v7                      // 
v_accvgpr_write_b32 acc77, v8                      // 
v_accvgpr_write_b32 acc14, v9                      // 
v_accvgpr_write_b32 acc78, v10                     // 
v_accvgpr_write_b32 acc15, v11                     // 
v_accvgpr_read_b32 v5, acc92                       // glvw 7 mb 3 tt1 1 r 0
v_accvgpr_read_b32 v6, acc29                       // glvw 7 mb 3 tt1 1 r 0
v_accvgpr_read_b32 v7, acc93                       // glvw 7 mb 3 tt1 1 r 0
v_accvgpr_read_b32 v8, acc30                       // glvw 7 mb 3 tt1 1 r 0
v_accvgpr_read_b32 v9, acc94                       // glvw 7 mb 3 tt1 1 r 0
v_accvgpr_read_b32 v10, acc31                      // glvw 7 mb 3 tt1 1 r 0
v_accvgpr_read_b32 v11, acc95                      // glvw 7 mb 3 tt1 1 r 0
s_nop 1                                            // v_accvgpr read vgpr after write vgpr: 2 wait states
v_accvgpr_write_b32 acc28, v5                      // 
v_accvgpr_write_b32 acc92, v6                      // 
v_accvgpr_write_b32 acc29, v7                      // 
v_accvgpr_write_b32 acc93, v8                      // 
v_accvgpr_write_b32 acc30, v9                      // 
v_accvgpr_write_b32 acc94, v10                     // 
v_accvgpr_write_b32 acc31, v11                     // 
v_accvgpr_read_b32 v5, acc108                      // glvw 7 mb 3 tt1 2 r 0
v_accvgpr_read_b32 v6, acc45                       // glvw 7 mb 3 tt1 2 r 0
v_accvgpr_read_b32 v7, acc109                      // glvw 7 mb 3 tt1 2 r 0
v_accvgpr_read_b32 v8, acc46                       // glvw 7 mb 3 tt1 2 r 0
v_accvgpr_read_b32 v9, acc110                      // glvw 7 mb 3 tt1 2 r 0
v_accvgpr_read_b32 v10, acc47                      // glvw 7 mb 3 tt1 2 r 0
v_accvgpr_read_b32 v11, acc111                     // glvw 7 mb 3 tt1 2 r 0
s_nop 1                                            // v_accvgpr read vgpr after write vgpr: 2 wait states
v_accvgpr_write_b32 acc44, v5                      // 
v_accvgpr_write_b32 acc108, v6                     // 
v_accvgpr_write_b32 acc45, v7                      // 
v_accvgpr_write_b32 acc109, v8                     // 
v_accvgpr_write_b32 acc46, v9                      // 
v_accvgpr_write_b32 acc110, v10                    // 
v_accvgpr_write_b32 acc47, v11                     // 
v_accvgpr_read_b32 v5, acc124                      // glvw 7 mb 3 tt1 3 r 0
v_accvgpr_read_b32 v6, acc61                       // glvw 7 mb 3 tt1 3 r 0
v_accvgpr_read_b32 v7, acc125                      // glvw 7 mb 3 tt1 3 r 0
v_accvgpr_read_b32 v8, acc62                       // glvw 7 mb 3 tt1 3 r 0
v_accvgpr_read_b32 v9, acc126                      // glvw 7 mb 3 tt1 3 r 0
v_accvgpr_read_b32 v10, acc63                      // glvw 7 mb 3 tt1 3 r 0
v_accvgpr_read_b32 v11, acc127                     // glvw 7 mb 3 tt1 3 r 0
s_nop 1                                            // v_accvgpr read vgpr after write vgpr: 2 wait states
v_accvgpr_write_b32 acc60, v5                      // 
v_accvgpr_write_b32 acc124, v6                     // 
v_accvgpr_write_b32 acc61, v7                      // 
v_accvgpr_write_b32 acc125, v8                     // 
v_accvgpr_write_b32 acc62, v9                      // 
v_accvgpr_write_b32 acc126, v10                    // 
v_accvgpr_write_b32 acc63, v11                     // 
s_mov_b64 s[54:55], 0xFFFFFFFFFFFFFFFF             // to restore all threads active
s_or_saveexec_b64 vcc, s[54:55]                    // all threads active
s_branch label_0148                                // done shifting


/******************************************/
/* shift d1 r=7 mb=4 vw0                  */
/******************************************/
label_0141: // r7 mb4 vw0 
s_mov_b32 s54, 16                                  // 
_v_cmpx_eq_u32 s[54:55], v4, s54                   // is thread in edge glvw region
v_and_b32 v0, 63, v[vgprSerial]                    // permute register between threads
v_lshlrev_b32 v0, 2, v0                            // permute register between threads
v_accvgpr_read_b32 v5, acc192                      // glvw 7 mb 4 tt1 0 r 0
v_accvgpr_read_b32 v6, acc129                      // glvw 7 mb 4 tt1 0 r 0
v_accvgpr_read_b32 v7, acc193                      // glvw 7 mb 4 tt1 0 r 0
v_accvgpr_read_b32 v8, acc130                      // glvw 7 mb 4 tt1 0 r 0
v_accvgpr_read_b32 v9, acc194                      // glvw 7 mb 4 tt1 0 r 0
v_accvgpr_read_b32 v10, acc131                     // glvw 7 mb 4 tt1 0 r 0
v_accvgpr_read_b32 v11, acc195                     // glvw 7 mb 4 tt1 0 r 0
s_nop 1                                            // v_accvgpr read vgpr after write vgpr: 2 wait states
v_accvgpr_write_b32 acc128, v5                     // 
v_accvgpr_write_b32 acc192, v6                     // 
v_accvgpr_write_b32 acc129, v7                     // 
v_accvgpr_write_b32 acc193, v8                     // 
v_accvgpr_write_b32 acc130, v9                     // 
v_accvgpr_write_b32 acc194, v10                    // 
v_accvgpr_write_b32 acc131, v11                    // 
v_accvgpr_read_b32 v5, acc208                      // glvw 7 mb 4 tt1 1 r 0
v_accvgpr_read_b32 v6, acc145                      // glvw 7 mb 4 tt1 1 r 0
v_accvgpr_read_b32 v7, acc209                      // glvw 7 mb 4 tt1 1 r 0
v_accvgpr_read_b32 v8, acc146                      // glvw 7 mb 4 tt1 1 r 0
v_accvgpr_read_b32 v9, acc210                      // glvw 7 mb 4 tt1 1 r 0
v_accvgpr_read_b32 v10, acc147                     // glvw 7 mb 4 tt1 1 r 0
v_accvgpr_read_b32 v11, acc211                     // glvw 7 mb 4 tt1 1 r 0
s_nop 1                                            // v_accvgpr read vgpr after write vgpr: 2 wait states
v_accvgpr_write_b32 acc144, v5                     // 
v_accvgpr_write_b32 acc208, v6                     // 
v_accvgpr_write_b32 acc145, v7                     // 
v_accvgpr_write_b32 acc209, v8                     // 
v_accvgpr_write_b32 acc146, v9                     // 
v_accvgpr_write_b32 acc210, v10                    // 
v_accvgpr_write_b32 acc147, v11                    // 
v_accvgpr_read_b32 v5, acc224                      // glvw 7 mb 4 tt1 2 r 0
v_accvgpr_read_b32 v6, acc161                      // glvw 7 mb 4 tt1 2 r 0
v_accvgpr_read_b32 v7, acc225                      // glvw 7 mb 4 tt1 2 r 0
v_accvgpr_read_b32 v8, acc162                      // glvw 7 mb 4 tt1 2 r 0
v_accvgpr_read_b32 v9, acc226                      // glvw 7 mb 4 tt1 2 r 0
v_accvgpr_read_b32 v10, acc163                     // glvw 7 mb 4 tt1 2 r 0
v_accvgpr_read_b32 v11, acc227                     // glvw 7 mb 4 tt1 2 r 0
s_nop 1                                            // v_accvgpr read vgpr after write vgpr: 2 wait states
v_accvgpr_write_b32 acc160, v5                     // 
v_accvgpr_write_b32 acc224, v6                     // 
v_accvgpr_write_b32 acc161, v7                     // 
v_accvgpr_write_b32 acc225, v8                     // 
v_accvgpr_write_b32 acc162, v9                     // 
v_accvgpr_write_b32 acc226, v10                    // 
v_accvgpr_write_b32 acc163, v11                    // 
v_accvgpr_read_b32 v5, acc240                      // glvw 7 mb 4 tt1 3 r 0
v_accvgpr_read_b32 v6, acc177                      // glvw 7 mb 4 tt1 3 r 0
v_accvgpr_read_b32 v7, acc241                      // glvw 7 mb 4 tt1 3 r 0
v_accvgpr_read_b32 v8, acc178                      // glvw 7 mb 4 tt1 3 r 0
v_accvgpr_read_b32 v9, acc242                      // glvw 7 mb 4 tt1 3 r 0
v_accvgpr_read_b32 v10, acc179                     // glvw 7 mb 4 tt1 3 r 0
v_accvgpr_read_b32 v11, acc243                     // glvw 7 mb 4 tt1 3 r 0
s_nop 1                                            // v_accvgpr read vgpr after write vgpr: 2 wait states
v_accvgpr_write_b32 acc176, v5                     // 
v_accvgpr_write_b32 acc240, v6                     // 
v_accvgpr_write_b32 acc177, v7                     // 
v_accvgpr_write_b32 acc241, v8                     // 
v_accvgpr_write_b32 acc178, v9                     // 
v_accvgpr_write_b32 acc242, v10                    // 
v_accvgpr_write_b32 acc179, v11                    // 
s_mov_b64 s[54:55], 0xFFFFFFFFFFFFFFFF             // to restore all threads active
s_or_saveexec_b64 vcc, s[54:55]                    // all threads active
s_branch label_0148                                // done shifting


/******************************************/
/* shift d1 r=7 mb=5 vw0                  */
/******************************************/
label_0143: // r7 mb5 vw0 
s_mov_b32 s54, 18                                  // 
_v_cmpx_eq_u32 s[54:55], v4, s54                   // is thread in edge glvw region
v_and_b32 v0, 63, v[vgprSerial]                    // permute register between threads
v_lshlrev_b32 v0, 2, v0                            // permute register between threads
v_accvgpr_read_b32 v5, acc196                      // glvw 7 mb 5 tt1 0 r 0
v_accvgpr_read_b32 v6, acc133                      // glvw 7 mb 5 tt1 0 r 0
v_accvgpr_read_b32 v7, acc197                      // glvw 7 mb 5 tt1 0 r 0
v_accvgpr_read_b32 v8, acc134                      // glvw 7 mb 5 tt1 0 r 0
v_accvgpr_read_b32 v9, acc198                      // glvw 7 mb 5 tt1 0 r 0
v_accvgpr_read_b32 v10, acc135                     // glvw 7 mb 5 tt1 0 r 0
v_accvgpr_read_b32 v11, acc199                     // glvw 7 mb 5 tt1 0 r 0
s_nop 1                                            // v_accvgpr read vgpr after write vgpr: 2 wait states
v_accvgpr_write_b32 acc132, v5                     // 
v_accvgpr_write_b32 acc196, v6                     // 
v_accvgpr_write_b32 acc133, v7                     // 
v_accvgpr_write_b32 acc197, v8                     // 
v_accvgpr_write_b32 acc134, v9                     // 
v_accvgpr_write_b32 acc198, v10                    // 
v_accvgpr_write_b32 acc135, v11                    // 
v_accvgpr_read_b32 v5, acc212                      // glvw 7 mb 5 tt1 1 r 0
v_accvgpr_read_b32 v6, acc149                      // glvw 7 mb 5 tt1 1 r 0
v_accvgpr_read_b32 v7, acc213                      // glvw 7 mb 5 tt1 1 r 0
v_accvgpr_read_b32 v8, acc150                      // glvw 7 mb 5 tt1 1 r 0
v_accvgpr_read_b32 v9, acc214                      // glvw 7 mb 5 tt1 1 r 0
v_accvgpr_read_b32 v10, acc151                     // glvw 7 mb 5 tt1 1 r 0
v_accvgpr_read_b32 v11, acc215                     // glvw 7 mb 5 tt1 1 r 0
s_nop 1                                            // v_accvgpr read vgpr after write vgpr: 2 wait states
v_accvgpr_write_b32 acc148, v5                     // 
v_accvgpr_write_b32 acc212, v6                     // 
v_accvgpr_write_b32 acc149, v7                     // 
v_accvgpr_write_b32 acc213, v8                     // 
v_accvgpr_write_b32 acc150, v9                     // 
v_accvgpr_write_b32 acc214, v10                    // 
v_accvgpr_write_b32 acc151, v11                    // 
v_accvgpr_read_b32 v5, acc228                      // glvw 7 mb 5 tt1 2 r 0
v_accvgpr_read_b32 v6, acc165                      // glvw 7 mb 5 tt1 2 r 0
v_accvgpr_read_b32 v7, acc229                      // glvw 7 mb 5 tt1 2 r 0
v_accvgpr_read_b32 v8, acc166                      // glvw 7 mb 5 tt1 2 r 0
v_accvgpr_read_b32 v9, acc230                      // glvw 7 mb 5 tt1 2 r 0
v_accvgpr_read_b32 v10, acc167                     // glvw 7 mb 5 tt1 2 r 0
v_accvgpr_read_b32 v11, acc231                     // glvw 7 mb 5 tt1 2 r 0
s_nop 1                                            // v_accvgpr read vgpr after write vgpr: 2 wait states
v_accvgpr_write_b32 acc164, v5                     // 
v_accvgpr_write_b32 acc228, v6                     // 
v_accvgpr_write_b32 acc165, v7                     // 
v_accvgpr_write_b32 acc229, v8                     // 
v_accvgpr_write_b32 acc166, v9                     // 
v_accvgpr_write_b32 acc230, v10                    // 
v_accvgpr_write_b32 acc167, v11                    // 
v_accvgpr_read_b32 v5, acc244                      // glvw 7 mb 5 tt1 3 r 0
v_accvgpr_read_b32 v6, acc181                      // glvw 7 mb 5 tt1 3 r 0
v_accvgpr_read_b32 v7, acc245                      // glvw 7 mb 5 tt1 3 r 0
v_accvgpr_read_b32 v8, acc182                      // glvw 7 mb 5 tt1 3 r 0
v_accvgpr_read_b32 v9, acc246                      // glvw 7 mb 5 tt1 3 r 0
v_accvgpr_read_b32 v10, acc183                     // glvw 7 mb 5 tt1 3 r 0
v_accvgpr_read_b32 v11, acc247                     // glvw 7 mb 5 tt1 3 r 0
s_nop 1                                            // v_accvgpr read vgpr after write vgpr: 2 wait states
v_accvgpr_write_b32 acc180, v5                     // 
v_accvgpr_write_b32 acc244, v6                     // 
v_accvgpr_write_b32 acc181, v7                     // 
v_accvgpr_write_b32 acc245, v8                     // 
v_accvgpr_write_b32 acc182, v9                     // 
v_accvgpr_write_b32 acc246, v10                    // 
v_accvgpr_write_b32 acc183, v11                    // 
s_mov_b64 s[54:55], 0xFFFFFFFFFFFFFFFF             // to restore all threads active
s_or_saveexec_b64 vcc, s[54:55]                    // all threads active
s_branch label_0148                                // done shifting


/******************************************/
/* shift d1 r=7 mb=6 vw0                  */
/******************************************/
label_0145: // r7 mb6 vw0 
s_mov_b32 s54, 20                                  // 
_v_cmpx_eq_u32 s[54:55], v4, s54                   // is thread in edge glvw region
v_and_b32 v0, 63, v[vgprSerial]                    // permute register between threads
v_lshlrev_b32 v0, 2, v0                            // permute register between threads
v_accvgpr_read_b32 v5, acc200                      // glvw 7 mb 6 tt1 0 r 0
v_accvgpr_read_b32 v6, acc137                      // glvw 7 mb 6 tt1 0 r 0
v_accvgpr_read_b32 v7, acc201                      // glvw 7 mb 6 tt1 0 r 0
v_accvgpr_read_b32 v8, acc138                      // glvw 7 mb 6 tt1 0 r 0
v_accvgpr_read_b32 v9, acc202                      // glvw 7 mb 6 tt1 0 r 0
v_accvgpr_read_b32 v10, acc139                     // glvw 7 mb 6 tt1 0 r 0
v_accvgpr_read_b32 v11, acc203                     // glvw 7 mb 6 tt1 0 r 0
s_nop 1                                            // v_accvgpr read vgpr after write vgpr: 2 wait states
v_accvgpr_write_b32 acc136, v5                     // 
v_accvgpr_write_b32 acc200, v6                     // 
v_accvgpr_write_b32 acc137, v7                     // 
v_accvgpr_write_b32 acc201, v8                     // 
v_accvgpr_write_b32 acc138, v9                     // 
v_accvgpr_write_b32 acc202, v10                    // 
v_accvgpr_write_b32 acc139, v11                    // 
v_accvgpr_read_b32 v5, acc216                      // glvw 7 mb 6 tt1 1 r 0
v_accvgpr_read_b32 v6, acc153                      // glvw 7 mb 6 tt1 1 r 0
v_accvgpr_read_b32 v7, acc217                      // glvw 7 mb 6 tt1 1 r 0
v_accvgpr_read_b32 v8, acc154                      // glvw 7 mb 6 tt1 1 r 0
v_accvgpr_read_b32 v9, acc218                      // glvw 7 mb 6 tt1 1 r 0
v_accvgpr_read_b32 v10, acc155                     // glvw 7 mb 6 tt1 1 r 0
v_accvgpr_read_b32 v11, acc219                     // glvw 7 mb 6 tt1 1 r 0
s_nop 1                                            // v_accvgpr read vgpr after write vgpr: 2 wait states
v_accvgpr_write_b32 acc152, v5                     // 
v_accvgpr_write_b32 acc216, v6                     // 
v_accvgpr_write_b32 acc153, v7                     // 
v_accvgpr_write_b32 acc217, v8                     // 
v_accvgpr_write_b32 acc154, v9                     // 
v_accvgpr_write_b32 acc218, v10                    // 
v_accvgpr_write_b32 acc155, v11                    // 
v_accvgpr_read_b32 v5, acc232                      // glvw 7 mb 6 tt1 2 r 0
v_accvgpr_read_b32 v6, acc169                      // glvw 7 mb 6 tt1 2 r 0
v_accvgpr_read_b32 v7, acc233                      // glvw 7 mb 6 tt1 2 r 0
v_accvgpr_read_b32 v8, acc170                      // glvw 7 mb 6 tt1 2 r 0
v_accvgpr_read_b32 v9, acc234                      // glvw 7 mb 6 tt1 2 r 0
v_accvgpr_read_b32 v10, acc171                     // glvw 7 mb 6 tt1 2 r 0
v_accvgpr_read_b32 v11, acc235                     // glvw 7 mb 6 tt1 2 r 0
s_nop 1                                            // v_accvgpr read vgpr after write vgpr: 2 wait states
v_accvgpr_write_b32 acc168, v5                     // 
v_accvgpr_write_b32 acc232, v6                     // 
v_accvgpr_write_b32 acc169, v7                     // 
v_accvgpr_write_b32 acc233, v8                     // 
v_accvgpr_write_b32 acc170, v9                     // 
v_accvgpr_write_b32 acc234, v10                    // 
v_accvgpr_write_b32 acc171, v11                    // 
v_accvgpr_read_b32 v5, acc248                      // glvw 7 mb 6 tt1 3 r 0
v_accvgpr_read_b32 v6, acc185                      // glvw 7 mb 6 tt1 3 r 0
v_accvgpr_read_b32 v7, acc249                      // glvw 7 mb 6 tt1 3 r 0
v_accvgpr_read_b32 v8, acc186                      // glvw 7 mb 6 tt1 3 r 0
v_accvgpr_read_b32 v9, acc250                      // glvw 7 mb 6 tt1 3 r 0
v_accvgpr_read_b32 v10, acc187                     // glvw 7 mb 6 tt1 3 r 0
v_accvgpr_read_b32 v11, acc251                     // glvw 7 mb 6 tt1 3 r 0
s_nop 1                                            // v_accvgpr read vgpr after write vgpr: 2 wait states
v_accvgpr_write_b32 acc184, v5                     // 
v_accvgpr_write_b32 acc248, v6                     // 
v_accvgpr_write_b32 acc185, v7                     // 
v_accvgpr_write_b32 acc249, v8                     // 
v_accvgpr_write_b32 acc186, v9                     // 
v_accvgpr_write_b32 acc250, v10                    // 
v_accvgpr_write_b32 acc187, v11                    // 
s_mov_b64 s[54:55], 0xFFFFFFFFFFFFFFFF             // to restore all threads active
s_or_saveexec_b64 vcc, s[54:55]                    // all threads active
s_branch label_0148                                // done shifting


/******************************************/
/* shift d1 r=7 mb=7 vw0                  */
/******************************************/
label_0147: // r7 mb7 vw0 
s_mov_b32 s54, 22                                  // 
_v_cmpx_eq_u32 s[54:55], v4, s54                   // is thread in edge glvw region
v_and_b32 v0, 63, v[vgprSerial]                    // permute register between threads
v_lshlrev_b32 v0, 2, v0                            // permute register between threads
v_accvgpr_read_b32 v5, acc204                      // glvw 7 mb 7 tt1 0 r 0
v_accvgpr_read_b32 v6, acc141                      // glvw 7 mb 7 tt1 0 r 0
v_accvgpr_read_b32 v7, acc205                      // glvw 7 mb 7 tt1 0 r 0
v_accvgpr_read_b32 v8, acc142                      // glvw 7 mb 7 tt1 0 r 0
v_accvgpr_read_b32 v9, acc206                      // glvw 7 mb 7 tt1 0 r 0
v_accvgpr_read_b32 v10, acc143                     // glvw 7 mb 7 tt1 0 r 0
v_accvgpr_read_b32 v11, acc207                     // glvw 7 mb 7 tt1 0 r 0
s_nop 1                                            // v_accvgpr read vgpr after write vgpr: 2 wait states
v_accvgpr_write_b32 acc140, v5                     // 
v_accvgpr_write_b32 acc204, v6                     // 
v_accvgpr_write_b32 acc141, v7                     // 
v_accvgpr_write_b32 acc205, v8                     // 
v_accvgpr_write_b32 acc142, v9                     // 
v_accvgpr_write_b32 acc206, v10                    // 
v_accvgpr_write_b32 acc143, v11                    // 
v_accvgpr_read_b32 v5, acc220                      // glvw 7 mb 7 tt1 1 r 0
v_accvgpr_read_b32 v6, acc157                      // glvw 7 mb 7 tt1 1 r 0
v_accvgpr_read_b32 v7, acc221                      // glvw 7 mb 7 tt1 1 r 0
v_accvgpr_read_b32 v8, acc158                      // glvw 7 mb 7 tt1 1 r 0
v_accvgpr_read_b32 v9, acc222                      // glvw 7 mb 7 tt1 1 r 0
v_accvgpr_read_b32 v10, acc159                     // glvw 7 mb 7 tt1 1 r 0
v_accvgpr_read_b32 v11, acc223                     // glvw 7 mb 7 tt1 1 r 0
s_nop 1                                            // v_accvgpr read vgpr after write vgpr: 2 wait states
v_accvgpr_write_b32 acc156, v5                     // 
v_accvgpr_write_b32 acc220, v6                     // 
v_accvgpr_write_b32 acc157, v7                     // 
v_accvgpr_write_b32 acc221, v8                     // 
v_accvgpr_write_b32 acc158, v9                     // 
v_accvgpr_write_b32 acc222, v10                    // 
v_accvgpr_write_b32 acc159, v11                    // 
v_accvgpr_read_b32 v5, acc236                      // glvw 7 mb 7 tt1 2 r 0
v_accvgpr_read_b32 v6, acc173                      // glvw 7 mb 7 tt1 2 r 0
v_accvgpr_read_b32 v7, acc237                      // glvw 7 mb 7 tt1 2 r 0
v_accvgpr_read_b32 v8, acc174                      // glvw 7 mb 7 tt1 2 r 0
v_accvgpr_read_b32 v9, acc238                      // glvw 7 mb 7 tt1 2 r 0
v_accvgpr_read_b32 v10, acc175                     // glvw 7 mb 7 tt1 2 r 0
v_accvgpr_read_b32 v11, acc239                     // glvw 7 mb 7 tt1 2 r 0
s_nop 1                                            // v_accvgpr read vgpr after write vgpr: 2 wait states
v_accvgpr_write_b32 acc172, v5                     // 
v_accvgpr_write_b32 acc236, v6                     // 
v_accvgpr_write_b32 acc173, v7                     // 
v_accvgpr_write_b32 acc237, v8                     // 
v_accvgpr_write_b32 acc174, v9                     // 
v_accvgpr_write_b32 acc238, v10                    // 
v_accvgpr_write_b32 acc175, v11                    // 
v_accvgpr_read_b32 v5, acc252                      // glvw 7 mb 7 tt1 3 r 0
v_accvgpr_read_b32 v6, acc189                      // glvw 7 mb 7 tt1 3 r 0
v_accvgpr_read_b32 v7, acc253                      // glvw 7 mb 7 tt1 3 r 0
v_accvgpr_read_b32 v8, acc190                      // glvw 7 mb 7 tt1 3 r 0
v_accvgpr_read_b32 v9, acc254                      // glvw 7 mb 7 tt1 3 r 0
v_accvgpr_read_b32 v10, acc191                     // glvw 7 mb 7 tt1 3 r 0
v_accvgpr_read_b32 v11, acc255                     // glvw 7 mb 7 tt1 3 r 0
s_nop 1                                            // v_accvgpr read vgpr after write vgpr: 2 wait states
v_accvgpr_write_b32 acc188, v5                     // 
v_accvgpr_write_b32 acc252, v6                     // 
v_accvgpr_write_b32 acc189, v7                     // 
v_accvgpr_write_b32 acc253, v8                     // 
v_accvgpr_write_b32 acc190, v9                     // 
v_accvgpr_write_b32 acc254, v10                    // 
v_accvgpr_write_b32 acc191, v11                    // 
s_mov_b64 s[54:55], 0xFFFFFFFFFFFFFFFF             // to restore all threads active
s_or_saveexec_b64 vcc, s[54:55]                    // all threads active
s_branch label_0148                                // done shifting

label_0148: // end shift0


	;; [unrolled: 1-line block ×3, first 2 shown]
/* not-LocalSplitU: global write indices */

/* computeStoreVgprs */
v_lshrrev_b32 v4, 6, v[vgprSerial]                 // v4 = v[vgprSerial] / 64
v_and_b32 v1, 63, v[vgprSerial]                    // v1 = v[vgprSerial] % 64
v_lshrrev_b32 v1, 5, v1                            // v1 = v1 / 32
v_lshlrev_b32 v1, 0x2, v1                          // thread0 * continuous_output
v_lshrrev_b32 v5, 1, v4                            // v5 = v4 / 2
v_mul_lo_u32 v5, 0x20, v5                          // wave coordination offset 1
_v_add_lshl_u32 v1, v5, v1, 1                      // coordination 1 = vwb *(wave_id1 + tid1)
v_mul_lo_u32 v2, v1, s[sgprStrideC1J]              //  offset 1
v_mul_lo_u32 v3, v1, s[sgprStrideD1J]              //  offset 1
v_and_b32 v5, 1, v4                                // v5 = v4 % 2
v_mul_lo_u32 v5, 0x20, v5                          // wave coordination offset 0
v_and_b32 v0, 31, v[vgprSerial]                    // v0 = v[vgprSerial] % 32
_v_add_lshl_u32 v0, v5, v0, 2                      // coordination 0 = vwa *(wave_id0 + tid0)
s_mul_i32 s53, 256, s[sgprWorkGroup0]              // wgp0 * MT0
_v_add_u32 v0, s53, v0                             // coord 0 = (tid0/MI_m)*4 + waveG0*MIB_m + MT0*SG0
s_mul_i32 s53, 256, s[sgprWorkGroup1]              // wgp1 * MT1
_v_add_u32 v1, s53, v1                             // coord 1 = (tid0%MI_m) + waveG1*MIB_n + MT1*SG1


/* not-LocalSplitU: global write */

s_cmpk_eq_u32 s[sgprBeta], 0x0                     // Beta == 0
s_cbranch_scc0 GW_Beta_179                         // Branch if Beta is not zero

s_and_b32 s54, 255, s[sgprSizeI]                   // s54 = s[sgprSizeI] % 256
s_add_u32 s55, -0x1, s[sgprNumWorkGroups0]         // 
s_cmp_ge_u32 s[sgprWorkGroup0], s55                // wg0 >= nwg0-1 ?
s_cselect_b32 s54, s54, 0                          // set rMT0
s_cmpk_gt_u32 s54, 0x0                             // rMT0 > 0
s_cbranch_scc1 GW_B0_E1_170                        // jump if edges required
s_and_b32 s54, 255, s[sgprSizeJ]                   // s54 = s[sgprSizeJ] % 256
s_add_u32 s55, -0x1, s[sgprNumWorkGroups1]         // 
s_cmp_ge_u32 s[sgprWorkGroup1], s55                // wg1 >= nwg1-1
s_cselect_b32 s54, s54, 0                          // set rMT1
s_cmpk_gt_u32 s54, 0x0                             // rMT1 > 0
s_cbranch_scc1 GW_B0_E1_170                        // jump if edges required
GW_B0_E0_167:

/* edge=0, allocate 2 sgpr. perBatchTmpS=2 perBatchMaskS=0 perElementMaskS=0 elementsPerBatch=60 */
/* optSingleColVgpr=1 optSharedColVgpr=0 optSGPRUsage=BufferLoad_Mask optSrdIncForRow=1 */

/******************************************/
/* Global Write Alpha Batch #0 (d1,d0,vc1,vc0) = */
/*    (0,0,0,0:vw4); (0,0,1,0:vw4); (0,0,2,0:vw4); (0,0,3,0:vw4); (0,0,4,0:vw4); (0,0,5,0:vw4); (0,0,6,0:vw4); (0,0,7,0:vw4); (1,0,0,0:vw4); (1,0,1,0:vw4); (1,0,2,0:vw4); (1,0,3,0:vw4); (1,0,4,0:vw4); (1,0,5,0:vw4); (1,0,6,0:vw4); (1,0,7,0:vw4); (2,0,0,0:vw4); (2,0,1,0:vw4); (2,0,2,0:vw4); (2,0,3,0:vw4); (2,0,4,0:vw4); (2,0,5,0:vw4); (2,0,6,0:vw4); (2,0,7,0:vw4); (3,0,0,0:vw4); (3,0,1,0:vw4); (3,0,2,0:vw4); (3,0,3,0:vw4); (3,0,4,0:vw4); (3,0,5,0:vw4); (3,0,6,0:vw4); (3,0,7,0:vw4); (4,0,0,0:vw4); (4,0,1,0:vw4); (4,0,2,0:vw4); (4,0,3,0:vw4); (4,0,4,0:vw4); (4,0,5,0:vw4); (4,0,6,0:vw4); (4,0,7,0:vw4); (5,0,0,0:vw4); (5,0,1,0:vw4); (5,0,2,0:vw4); (5,0,3,0:vw4); (5,0,4,0:vw4); (5,0,5,0:vw4); (5,0,6,0:vw4); (5,0,7,0:vw4); (6,0,0,0:vw4); (6,0,1,0:vw4); (6,0,2,0:vw4); (6,0,3,0:vw4); (6,0,4,0:vw4); (6,0,5,0:vw4); (6,0,6,0:vw4); (6,0,7,0:vw4); (7,0,0,0:vw4); (7,0,1,0:vw4); (7,0,2,0:vw4); (7,0,3,0:vw4) */
/******************************************/

/* calc coords, apply mask, and issue loads (if necessary) */
/* (d1,vc1,d0,vc0)=(0,0,0,0) */
/* (d1,vc1,d0,vc0)=(0,1,0,0) */
	;; [unrolled: 1-line block ×60, first 2 shown]
_v_add_lshl_u32 v6, v3, v0, 0x2                    // optSingleColVgpr scaleToBpe: sharedAddrVgpr <- cinRowPtr + coord0, scaled by BPE. BSHERE:coord0=0, coord0Vgpr=0
v_accvgpr_read_b32 v[vgprValuC+8], acc0 // copy acc to vreg[0]
v_accvgpr_read_b32 v[vgprValuC+9], acc16 // copy acc to vreg[1]
v_accvgpr_read_b32 v[vgprValuC+10], acc32 // copy acc to vreg[2]
v_accvgpr_read_b32 v[vgprValuC+11], acc48 // copy acc to vreg[3]
v_accvgpr_read_b32 v[vgprValuC+12], acc64 // copy acc to vreg[4]
v_accvgpr_read_b32 v[vgprValuC+13], acc80 // copy acc to vreg[5]
v_accvgpr_read_b32 v[vgprValuC+14], acc96 // copy acc to vreg[6]
v_accvgpr_read_b32 v[vgprValuC+15], acc112 // copy acc to vreg[7]
v_accvgpr_read_b32 v[vgprValuC+16], acc1 // copy acc to vreg[8]
v_accvgpr_read_b32 v[vgprValuC+17], acc17 // copy acc to vreg[9]
v_accvgpr_read_b32 v[vgprValuC+18], acc33 // copy acc to vreg[10]
v_accvgpr_read_b32 v[vgprValuC+19], acc49 // copy acc to vreg[11]
v_accvgpr_read_b32 v[vgprValuC+20], acc65 // copy acc to vreg[12]
v_accvgpr_read_b32 v[vgprValuC+21], acc81 // copy acc to vreg[13]
v_accvgpr_read_b32 v[vgprValuC+22], acc97 // copy acc to vreg[14]
v_accvgpr_read_b32 v[vgprValuC+23], acc113 // copy acc to vreg[15]
v_accvgpr_read_b32 v[vgprValuC+24], acc2 // copy acc to vreg[16]
v_accvgpr_read_b32 v[vgprValuC+25], acc18 // copy acc to vreg[17]
v_accvgpr_read_b32 v[vgprValuC+26], acc34 // copy acc to vreg[18]
v_accvgpr_read_b32 v[vgprValuC+27], acc50 // copy acc to vreg[19]
v_accvgpr_read_b32 v[vgprValuC+28], acc66 // copy acc to vreg[20]
v_accvgpr_read_b32 v[vgprValuC+29], acc82 // copy acc to vreg[21]
v_accvgpr_read_b32 v[vgprValuC+30], acc98 // copy acc to vreg[22]
v_accvgpr_read_b32 v[vgprValuC+31], acc114 // copy acc to vreg[23]
v_accvgpr_read_b32 v[vgprValuC+32], acc3 // copy acc to vreg[24]
v_accvgpr_read_b32 v[vgprValuC+33], acc19 // copy acc to vreg[25]
v_accvgpr_read_b32 v[vgprValuC+34], acc35 // copy acc to vreg[26]
v_accvgpr_read_b32 v[vgprValuC+35], acc51 // copy acc to vreg[27]
v_accvgpr_read_b32 v[vgprValuC+36], acc67 // copy acc to vreg[28]
v_accvgpr_read_b32 v[vgprValuC+37], acc83 // copy acc to vreg[29]
v_accvgpr_read_b32 v[vgprValuC+38], acc99 // copy acc to vreg[30]
v_accvgpr_read_b32 v[vgprValuC+39], acc115 // copy acc to vreg[31]
v_accvgpr_read_b32 v[vgprValuC+40], acc4 // copy acc to vreg[32]
v_accvgpr_read_b32 v[vgprValuC+41], acc20 // copy acc to vreg[33]
v_accvgpr_read_b32 v[vgprValuC+42], acc36 // copy acc to vreg[34]
v_accvgpr_read_b32 v[vgprValuC+43], acc52 // copy acc to vreg[35]
v_accvgpr_read_b32 v[vgprValuC+44], acc68 // copy acc to vreg[36]
v_accvgpr_read_b32 v[vgprValuC+45], acc84 // copy acc to vreg[37]
v_accvgpr_read_b32 v[vgprValuC+46], acc100 // copy acc to vreg[38]
v_accvgpr_read_b32 v[vgprValuC+47], acc116 // copy acc to vreg[39]
v_accvgpr_read_b32 v[vgprValuC+48], acc5 // copy acc to vreg[40]
v_accvgpr_read_b32 v[vgprValuC+49], acc21 // copy acc to vreg[41]
v_accvgpr_read_b32 v[vgprValuC+50], acc37 // copy acc to vreg[42]
v_accvgpr_read_b32 v[vgprValuC+51], acc53 // copy acc to vreg[43]
v_accvgpr_read_b32 v[vgprValuC+60], acc69 // copy acc to vreg[44]
v_accvgpr_read_b32 v[vgprValuC+61], acc85 // copy acc to vreg[45]
v_accvgpr_read_b32 v[vgprValuC+62], acc101 // copy acc to vreg[46]
v_accvgpr_read_b32 v[vgprValuC+63], acc117 // copy acc to vreg[47]
v_accvgpr_read_b32 v[vgprValuC+64], acc6 // copy acc to vreg[48]
v_accvgpr_read_b32 v[vgprValuC+65], acc22 // copy acc to vreg[49]
v_accvgpr_read_b32 v[vgprValuC+66], acc38 // copy acc to vreg[50]
v_accvgpr_read_b32 v[vgprValuC+67], acc54 // copy acc to vreg[51]
v_accvgpr_read_b32 v[vgprValuC+68], acc70 // copy acc to vreg[52]
v_accvgpr_read_b32 v[vgprValuC+69], acc86 // copy acc to vreg[53]
v_accvgpr_read_b32 v[vgprValuC+70], acc102 // copy acc to vreg[54]
v_accvgpr_read_b32 v[vgprValuC+71], acc118 // copy acc to vreg[55]
v_accvgpr_read_b32 v[vgprValuC+72], acc7 // copy acc to vreg[56]
v_accvgpr_read_b32 v[vgprValuC+73], acc23 // copy acc to vreg[57]
v_accvgpr_read_b32 v[vgprValuC+74], acc39 // copy acc to vreg[58]
v_accvgpr_read_b32 v[vgprValuC+75], acc55 // copy acc to vreg[59]
v_accvgpr_read_b32 v[vgprValuC+76], acc71 // copy acc to vreg[60]
v_accvgpr_read_b32 v[vgprValuC+77], acc87 // copy acc to vreg[61]
v_accvgpr_read_b32 v[vgprValuC+78], acc103 // copy acc to vreg[62]
v_accvgpr_read_b32 v[vgprValuC+79], acc119 // copy acc to vreg[63]
v_accvgpr_read_b32 v[vgprValuC+80], acc8 // copy acc to vreg[64]
v_accvgpr_read_b32 v[vgprValuC+81], acc24 // copy acc to vreg[65]
v_accvgpr_read_b32 v[vgprValuC+82], acc40 // copy acc to vreg[66]
v_accvgpr_read_b32 v[vgprValuC+83], acc56 // copy acc to vreg[67]
v_accvgpr_read_b32 v[vgprValuC+84], acc72 // copy acc to vreg[68]
v_accvgpr_read_b32 v[vgprValuC+85], acc88 // copy acc to vreg[69]
v_accvgpr_read_b32 v[vgprValuC+86], acc104 // copy acc to vreg[70]
v_accvgpr_read_b32 v[vgprValuC+87], acc120 // copy acc to vreg[71]
v_accvgpr_read_b32 v[vgprValuC+88], acc9 // copy acc to vreg[72]
v_accvgpr_read_b32 v[vgprValuC+89], acc25 // copy acc to vreg[73]
v_accvgpr_read_b32 v[vgprValuC+90], acc41 // copy acc to vreg[74]
v_accvgpr_read_b32 v[vgprValuC+91], acc57 // copy acc to vreg[75]
v_accvgpr_read_b32 v[vgprValuC+92], acc73 // copy acc to vreg[76]
v_accvgpr_read_b32 v[vgprValuC+93], acc89 // copy acc to vreg[77]
v_accvgpr_read_b32 v[vgprValuC+94], acc105 // copy acc to vreg[78]
v_accvgpr_read_b32 v[vgprValuC+95], acc121 // copy acc to vreg[79]
v_accvgpr_read_b32 v[vgprValuC+96], acc10 // copy acc to vreg[80]
v_accvgpr_read_b32 v[vgprValuC+97], acc26 // copy acc to vreg[81]
v_accvgpr_read_b32 v[vgprValuC+98], acc42 // copy acc to vreg[82]
v_accvgpr_read_b32 v[vgprValuC+99], acc58 // copy acc to vreg[83]
v_accvgpr_read_b32 v[vgprValuC+100], acc74 // copy acc to vreg[84]
v_accvgpr_read_b32 v[vgprValuC+101], acc90 // copy acc to vreg[85]
v_accvgpr_read_b32 v[vgprValuC+102], acc106 // copy acc to vreg[86]
v_accvgpr_read_b32 v[vgprValuC+103], acc122 // copy acc to vreg[87]
v_accvgpr_read_b32 v[vgprValuC+104], acc11 // copy acc to vreg[88]
v_accvgpr_read_b32 v[vgprValuC+105], acc27 // copy acc to vreg[89]
v_accvgpr_read_b32 v[vgprValuC+106], acc43 // copy acc to vreg[90]
v_accvgpr_read_b32 v[vgprValuC+107], acc59 // copy acc to vreg[91]
v_accvgpr_read_b32 v[vgprValuC+108], acc75 // copy acc to vreg[92]
v_accvgpr_read_b32 v[vgprValuC+109], acc91 // copy acc to vreg[93]
v_accvgpr_read_b32 v[vgprValuC+110], acc107 // copy acc to vreg[94]
v_accvgpr_read_b32 v[vgprValuC+111], acc123 // copy acc to vreg[95]
v_accvgpr_read_b32 v[vgprValuC+112], acc12 // copy acc to vreg[96]
v_accvgpr_read_b32 v[vgprValuC+113], acc28 // copy acc to vreg[97]
v_accvgpr_read_b32 v[vgprValuC+114], acc44 // copy acc to vreg[98]
v_accvgpr_read_b32 v[vgprValuC+115], acc60 // copy acc to vreg[99]
v_accvgpr_read_b32 v[vgprValuC+116], acc76 // copy acc to vreg[100]
v_accvgpr_read_b32 v[vgprValuC+117], acc92 // copy acc to vreg[101]
v_accvgpr_read_b32 v[vgprValuC+118], acc108 // copy acc to vreg[102]
v_accvgpr_read_b32 v[vgprValuC+119], acc124 // copy acc to vreg[103]
v_accvgpr_read_b32 v[vgprValuC+120], acc13 // copy acc to vreg[104]
v_accvgpr_read_b32 v[vgprValuC+121], acc29 // copy acc to vreg[105]
v_accvgpr_read_b32 v[vgprValuC+122], acc45 // copy acc to vreg[106]
v_accvgpr_read_b32 v[vgprValuC+123], acc61 // copy acc to vreg[107]
v_accvgpr_read_b32 v[vgprValuC+124], acc77 // copy acc to vreg[108]
v_accvgpr_read_b32 v[vgprValuC+125], acc93 // copy acc to vreg[109]
v_accvgpr_read_b32 v[vgprValuC+126], acc109 // copy acc to vreg[110]
v_accvgpr_read_b32 v[vgprValuC+127], acc125 // copy acc to vreg[111]
v_accvgpr_read_b32 v[vgprValuC+128], acc14 // copy acc to vreg[112]
v_accvgpr_read_b32 v[vgprValuC+129], acc30 // copy acc to vreg[113]
v_accvgpr_read_b32 v[vgprValuC+130], acc46 // copy acc to vreg[114]
v_accvgpr_read_b32 v[vgprValuC+131], acc62 // copy acc to vreg[115]
v_accvgpr_read_b32 v[vgprValuC+132], acc78 // copy acc to vreg[116]
v_accvgpr_read_b32 v[vgprValuC+133], acc94 // copy acc to vreg[117]
v_accvgpr_read_b32 v[vgprValuC+134], acc110 // copy acc to vreg[118]
v_accvgpr_read_b32 v[vgprValuC+135], acc126 // copy acc to vreg[119]
v_accvgpr_read_b32 v[vgprValuC+136], acc15 // copy acc to vreg[120]
v_accvgpr_read_b32 v[vgprValuC+137], acc31 // copy acc to vreg[121]
v_accvgpr_read_b32 v[vgprValuC+138], acc47 // copy acc to vreg[122]
v_accvgpr_read_b32 v[vgprValuC+139], acc63 // copy acc to vreg[123]
v_accvgpr_read_b32 v[vgprValuC+140], acc79 // copy acc to vreg[124]
v_accvgpr_read_b32 v[vgprValuC+141], acc95 // copy acc to vreg[125]
v_accvgpr_read_b32 v[vgprValuC+142], acc111 // copy acc to vreg[126]
v_accvgpr_read_b32 v[vgprValuC+143], acc127 // copy acc to vreg[127]
v_accvgpr_read_b32 v[vgprValuC+144], acc128 // copy acc to vreg[128]
v_accvgpr_read_b32 v[vgprValuC+145], acc144 // copy acc to vreg[129]
v_accvgpr_read_b32 v[vgprValuC+146], acc160 // copy acc to vreg[130]
v_accvgpr_read_b32 v[vgprValuC+147], acc176 // copy acc to vreg[131]
v_accvgpr_read_b32 v[vgprValuC+148], acc192 // copy acc to vreg[132]
v_accvgpr_read_b32 v[vgprValuC+149], acc208 // copy acc to vreg[133]
v_accvgpr_read_b32 v[vgprValuC+150], acc224 // copy acc to vreg[134]
v_accvgpr_read_b32 v[vgprValuC+151], acc240 // copy acc to vreg[135]
v_accvgpr_read_b32 v[vgprValuC+152], acc129 // copy acc to vreg[136]
v_accvgpr_read_b32 v[vgprValuC+153], acc145 // copy acc to vreg[137]
v_accvgpr_read_b32 v[vgprValuC+154], acc161 // copy acc to vreg[138]
v_accvgpr_read_b32 v[vgprValuC+155], acc177 // copy acc to vreg[139]
v_accvgpr_read_b32 v[vgprValuC+156], acc193 // copy acc to vreg[140]
v_accvgpr_read_b32 v[vgprValuC+157], acc209 // copy acc to vreg[141]
v_accvgpr_read_b32 v[vgprValuC+158], acc225 // copy acc to vreg[142]
v_accvgpr_read_b32 v[vgprValuC+159], acc241 // copy acc to vreg[143]
v_accvgpr_read_b32 v[vgprValuC+160], acc130 // copy acc to vreg[144]
v_accvgpr_read_b32 v[vgprValuC+161], acc146 // copy acc to vreg[145]
v_accvgpr_read_b32 v[vgprValuC+162], acc162 // copy acc to vreg[146]
v_accvgpr_read_b32 v[vgprValuC+163], acc178 // copy acc to vreg[147]
v_accvgpr_read_b32 v[vgprValuC+164], acc194 // copy acc to vreg[148]
v_accvgpr_read_b32 v[vgprValuC+165], acc210 // copy acc to vreg[149]
v_accvgpr_read_b32 v[vgprValuC+166], acc226 // copy acc to vreg[150]
v_accvgpr_read_b32 v[vgprValuC+167], acc242 // copy acc to vreg[151]
v_accvgpr_read_b32 v[vgprValuC+168], acc131 // copy acc to vreg[152]
v_accvgpr_read_b32 v[vgprValuC+169], acc147 // copy acc to vreg[153]
v_accvgpr_read_b32 v[vgprValuC+170], acc163 // copy acc to vreg[154]
v_accvgpr_read_b32 v[vgprValuC+171], acc179 // copy acc to vreg[155]
v_accvgpr_read_b32 v[vgprValuC+172], acc195 // copy acc to vreg[156]
v_accvgpr_read_b32 v[vgprValuC+173], acc211 // copy acc to vreg[157]
v_accvgpr_read_b32 v[vgprValuC+174], acc227 // copy acc to vreg[158]
v_accvgpr_read_b32 v[vgprValuC+175], acc243 // copy acc to vreg[159]
v_accvgpr_read_b32 v[vgprValuC+176], acc132 // copy acc to vreg[160]
v_accvgpr_read_b32 v[vgprValuC+177], acc148 // copy acc to vreg[161]
v_accvgpr_read_b32 v[vgprValuC+178], acc164 // copy acc to vreg[162]
v_accvgpr_read_b32 v[vgprValuC+179], acc180 // copy acc to vreg[163]
v_accvgpr_read_b32 v[vgprValuC+180], acc196 // copy acc to vreg[164]
v_accvgpr_read_b32 v[vgprValuC+181], acc212 // copy acc to vreg[165]
v_accvgpr_read_b32 v[vgprValuC+182], acc228 // copy acc to vreg[166]
v_accvgpr_read_b32 v[vgprValuC+183], acc244 // copy acc to vreg[167]
v_accvgpr_read_b32 v[vgprValuC+184], acc133 // copy acc to vreg[168]
v_accvgpr_read_b32 v[vgprValuC+185], acc149 // copy acc to vreg[169]
v_accvgpr_read_b32 v[vgprValuC+186], acc165 // copy acc to vreg[170]
v_accvgpr_read_b32 v[vgprValuC+187], acc181 // copy acc to vreg[171]
v_accvgpr_read_b32 v[vgprValuC+188], acc197 // copy acc to vreg[172]
v_accvgpr_read_b32 v[vgprValuC+189], acc213 // copy acc to vreg[173]
v_accvgpr_read_b32 v[vgprValuC+190], acc229 // copy acc to vreg[174]
v_accvgpr_read_b32 v[vgprValuC+191], acc245 // copy acc to vreg[175]
v_accvgpr_read_b32 v[vgprValuC+192], acc134 // copy acc to vreg[176]
v_accvgpr_read_b32 v[vgprValuC+193], acc150 // copy acc to vreg[177]
v_accvgpr_read_b32 v[vgprValuC+194], acc166 // copy acc to vreg[178]
v_accvgpr_read_b32 v[vgprValuC+195], acc182 // copy acc to vreg[179]
v_accvgpr_read_b32 v[vgprValuC+196], acc198 // copy acc to vreg[180]
v_accvgpr_read_b32 v[vgprValuC+197], acc214 // copy acc to vreg[181]
v_accvgpr_read_b32 v[vgprValuC+198], acc230 // copy acc to vreg[182]
v_accvgpr_read_b32 v[vgprValuC+199], acc246 // copy acc to vreg[183]
v_accvgpr_read_b32 v[vgprValuC+200], acc135 // copy acc to vreg[184]
v_accvgpr_read_b32 v[vgprValuC+201], acc151 // copy acc to vreg[185]
v_accvgpr_read_b32 v[vgprValuC+202], acc167 // copy acc to vreg[186]
v_accvgpr_read_b32 v[vgprValuC+203], acc183 // copy acc to vreg[187]
v_accvgpr_read_b32 v[vgprValuC+204], acc199 // copy acc to vreg[188]
v_accvgpr_read_b32 v[vgprValuC+205], acc215 // copy acc to vreg[189]
v_accvgpr_read_b32 v[vgprValuC+206], acc231 // copy acc to vreg[190]
v_accvgpr_read_b32 v[vgprValuC+207], acc247 // copy acc to vreg[191]
v_accvgpr_read_b32 v[vgprValuC+208], acc136 // copy acc to vreg[192]
v_accvgpr_read_b32 v[vgprValuC+209], acc152 // copy acc to vreg[193]
v_accvgpr_read_b32 v[vgprValuC+210], acc168 // copy acc to vreg[194]
v_accvgpr_read_b32 v[vgprValuC+211], acc184 // copy acc to vreg[195]
v_accvgpr_read_b32 v[vgprValuC+212], acc200 // copy acc to vreg[196]
v_accvgpr_read_b32 v[vgprValuC+213], acc216 // copy acc to vreg[197]
v_accvgpr_read_b32 v[vgprValuC+214], acc232 // copy acc to vreg[198]
v_accvgpr_read_b32 v[vgprValuC+215], acc248 // copy acc to vreg[199]
v_accvgpr_read_b32 v[vgprValuC+216], acc137 // copy acc to vreg[200]
v_accvgpr_read_b32 v[vgprValuC+217], acc153 // copy acc to vreg[201]
v_accvgpr_read_b32 v[vgprValuC+218], acc169 // copy acc to vreg[202]
v_accvgpr_read_b32 v[vgprValuC+219], acc185 // copy acc to vreg[203]
v_accvgpr_read_b32 v[vgprValuC+220], acc201 // copy acc to vreg[204]
v_accvgpr_read_b32 v[vgprValuC+221], acc217 // copy acc to vreg[205]
v_accvgpr_read_b32 v[vgprValuC+222], acc233 // copy acc to vreg[206]
v_accvgpr_read_b32 v[vgprValuC+223], acc249 // copy acc to vreg[207]
v_accvgpr_read_b32 v[vgprValuC+224], acc138 // copy acc to vreg[208]
v_accvgpr_read_b32 v[vgprValuC+225], acc154 // copy acc to vreg[209]
v_accvgpr_read_b32 v[vgprValuC+226], acc170 // copy acc to vreg[210]
v_accvgpr_read_b32 v[vgprValuC+227], acc186 // copy acc to vreg[211]
v_accvgpr_read_b32 v[vgprValuC+228], acc202 // copy acc to vreg[212]
v_accvgpr_read_b32 v[vgprValuC+229], acc218 // copy acc to vreg[213]
v_accvgpr_read_b32 v[vgprValuC+230], acc234 // copy acc to vreg[214]
v_accvgpr_read_b32 v[vgprValuC+231], acc250 // copy acc to vreg[215]
v_accvgpr_read_b32 v[vgprValuC+232], acc139 // copy acc to vreg[216]
v_accvgpr_read_b32 v[vgprValuC+233], acc155 // copy acc to vreg[217]
v_accvgpr_read_b32 v[vgprValuC+234], acc171 // copy acc to vreg[218]
v_accvgpr_read_b32 v[vgprValuC+235], acc187 // copy acc to vreg[219]
v_accvgpr_read_b32 v[vgprValuC+236], acc203 // copy acc to vreg[220]
v_accvgpr_read_b32 v[vgprValuC+237], acc219 // copy acc to vreg[221]
v_accvgpr_read_b32 v[vgprValuC+238], acc235 // copy acc to vreg[222]
v_accvgpr_read_b32 v[vgprValuC+239], acc251 // copy acc to vreg[223]
v_accvgpr_read_b32 v[vgprValuC+240], acc140 // copy acc to vreg[224]
v_accvgpr_read_b32 v[vgprValuC+241], acc156 // copy acc to vreg[225]
v_accvgpr_read_b32 v[vgprValuC+242], acc172 // copy acc to vreg[226]
v_accvgpr_read_b32 v[vgprValuC+243], acc188 // copy acc to vreg[227]
v_accvgpr_read_b32 v[vgprValuC+244], acc204 // copy acc to vreg[228]
v_accvgpr_read_b32 v[vgprValuC+245], acc220 // copy acc to vreg[229]
v_accvgpr_read_b32 v[vgprValuC+246], acc236 // copy acc to vreg[230]
v_accvgpr_read_b32 v[vgprValuC+247], acc252 // copy acc to vreg[231]
v_accvgpr_read_b32 v[vgprValuC+248], acc141 // copy acc to vreg[232]
v_accvgpr_read_b32 v[vgprValuC+249], acc157 // copy acc to vreg[233]
v_accvgpr_read_b32 v[vgprValuC+250], acc173 // copy acc to vreg[234]
v_accvgpr_read_b32 v[vgprValuC+251], acc189 // copy acc to vreg[235]
v_accvgpr_read_b32 v[vgprValuC+252], acc205 // copy acc to vreg[236]
v_accvgpr_read_b32 v[vgprValuC+253], acc221 // copy acc to vreg[237]
v_accvgpr_read_b32 v[vgprValuC+254], acc237 // copy acc to vreg[238]
v_accvgpr_read_b32 v[vgprValuC+255], acc253 // copy acc to vreg[239]
s_nop 1                                            // 2 wait states required before reading vgpr

/* rC *= alpha batchElements=[(0, 0, 0, 0), (0, 0, 1, 0), (0, 0, 2, 0), (0, 0, 3, 0), (0, 0, 4, 0), (0, 0, 5, 0), (0, 0, 6, 0), (0, 0, 7, 0), (1, 0, 0, 0), (1, 0, 1, 0), (1, 0, 2, 0), (1, 0, 3, 0), (1, 0, 4, 0), (1, 0, 5, 0), (1, 0, 6, 0), (1, 0, 7, 0), (2, 0, 0, 0), (2, 0, 1, 0), (2, 0, 2, 0), (2, 0, 3, 0), (2, 0, 4, 0), (2, 0, 5, 0), (2, 0, 6, 0), (2, 0, 7, 0), (3, 0, 0, 0), (3, 0, 1, 0), (3, 0, 2, 0), (3, 0, 3, 0), (3, 0, 4, 0), (3, 0, 5, 0), (3, 0, 6, 0), (3, 0, 7, 0), (4, 0, 0, 0), (4, 0, 1, 0), (4, 0, 2, 0), (4, 0, 3, 0), (4, 0, 4, 0), (4, 0, 5, 0), (4, 0, 6, 0), (4, 0, 7, 0), (5, 0, 0, 0), (5, 0, 1, 0), (5, 0, 2, 0), (5, 0, 3, 0), (5, 0, 4, 0), (5, 0, 5, 0), (5, 0, 6, 0), (5, 0, 7, 0), (6, 0, 0, 0), (6, 0, 1, 0), (6, 0, 2, 0), (6, 0, 3, 0), (6, 0, 4, 0), (6, 0, 5, 0), (6, 0, 6, 0), (6, 0, 7, 0), (7, 0, 0, 0), (7, 0, 1, 0), (7, 0, 2, 0), (7, 0, 3, 0)] */
v_mul_f32 v[vgprValuC+8], s[sgprAlpha], v[vgprValuC+8] // *= alpha
v_mul_f32 v[vgprValuC+9], s[sgprAlpha], v[vgprValuC+9] // *= alpha
v_mul_f32 v[vgprValuC+10], s[sgprAlpha], v[vgprValuC+10] // *= alpha
v_mul_f32 v[vgprValuC+11], s[sgprAlpha], v[vgprValuC+11] // *= alpha
v_mul_f32 v[vgprValuC+12], s[sgprAlpha], v[vgprValuC+12] // *= alpha
v_mul_f32 v[vgprValuC+13], s[sgprAlpha], v[vgprValuC+13] // *= alpha
v_mul_f32 v[vgprValuC+14], s[sgprAlpha], v[vgprValuC+14] // *= alpha
v_mul_f32 v[vgprValuC+15], s[sgprAlpha], v[vgprValuC+15] // *= alpha
v_mul_f32 v[vgprValuC+16], s[sgprAlpha], v[vgprValuC+16] // *= alpha
v_mul_f32 v[vgprValuC+17], s[sgprAlpha], v[vgprValuC+17] // *= alpha
v_mul_f32 v[vgprValuC+18], s[sgprAlpha], v[vgprValuC+18] // *= alpha
v_mul_f32 v[vgprValuC+19], s[sgprAlpha], v[vgprValuC+19] // *= alpha
v_mul_f32 v[vgprValuC+20], s[sgprAlpha], v[vgprValuC+20] // *= alpha
v_mul_f32 v[vgprValuC+21], s[sgprAlpha], v[vgprValuC+21] // *= alpha
v_mul_f32 v[vgprValuC+22], s[sgprAlpha], v[vgprValuC+22] // *= alpha
v_mul_f32 v[vgprValuC+23], s[sgprAlpha], v[vgprValuC+23] // *= alpha
v_mul_f32 v[vgprValuC+24], s[sgprAlpha], v[vgprValuC+24] // *= alpha
v_mul_f32 v[vgprValuC+25], s[sgprAlpha], v[vgprValuC+25] // *= alpha
v_mul_f32 v[vgprValuC+26], s[sgprAlpha], v[vgprValuC+26] // *= alpha
v_mul_f32 v[vgprValuC+27], s[sgprAlpha], v[vgprValuC+27] // *= alpha
v_mul_f32 v[vgprValuC+28], s[sgprAlpha], v[vgprValuC+28] // *= alpha
v_mul_f32 v[vgprValuC+29], s[sgprAlpha], v[vgprValuC+29] // *= alpha
v_mul_f32 v[vgprValuC+30], s[sgprAlpha], v[vgprValuC+30] // *= alpha
v_mul_f32 v[vgprValuC+31], s[sgprAlpha], v[vgprValuC+31] // *= alpha
v_mul_f32 v[vgprValuC+32], s[sgprAlpha], v[vgprValuC+32] // *= alpha
v_mul_f32 v[vgprValuC+33], s[sgprAlpha], v[vgprValuC+33] // *= alpha
v_mul_f32 v[vgprValuC+34], s[sgprAlpha], v[vgprValuC+34] // *= alpha
v_mul_f32 v[vgprValuC+35], s[sgprAlpha], v[vgprValuC+35] // *= alpha
v_mul_f32 v[vgprValuC+36], s[sgprAlpha], v[vgprValuC+36] // *= alpha
v_mul_f32 v[vgprValuC+37], s[sgprAlpha], v[vgprValuC+37] // *= alpha
v_mul_f32 v[vgprValuC+38], s[sgprAlpha], v[vgprValuC+38] // *= alpha
v_mul_f32 v[vgprValuC+39], s[sgprAlpha], v[vgprValuC+39] // *= alpha
v_mul_f32 v[vgprValuC+40], s[sgprAlpha], v[vgprValuC+40] // *= alpha
v_mul_f32 v[vgprValuC+41], s[sgprAlpha], v[vgprValuC+41] // *= alpha
v_mul_f32 v[vgprValuC+42], s[sgprAlpha], v[vgprValuC+42] // *= alpha
v_mul_f32 v[vgprValuC+43], s[sgprAlpha], v[vgprValuC+43] // *= alpha
v_mul_f32 v[vgprValuC+44], s[sgprAlpha], v[vgprValuC+44] // *= alpha
v_mul_f32 v[vgprValuC+45], s[sgprAlpha], v[vgprValuC+45] // *= alpha
v_mul_f32 v[vgprValuC+46], s[sgprAlpha], v[vgprValuC+46] // *= alpha
v_mul_f32 v[vgprValuC+47], s[sgprAlpha], v[vgprValuC+47] // *= alpha
v_mul_f32 v[vgprValuC+48], s[sgprAlpha], v[vgprValuC+48] // *= alpha
v_mul_f32 v[vgprValuC+49], s[sgprAlpha], v[vgprValuC+49] // *= alpha
v_mul_f32 v[vgprValuC+50], s[sgprAlpha], v[vgprValuC+50] // *= alpha
v_mul_f32 v[vgprValuC+51], s[sgprAlpha], v[vgprValuC+51] // *= alpha
v_mul_f32 v[vgprValuC+60], s[sgprAlpha], v[vgprValuC+60] // *= alpha
v_mul_f32 v[vgprValuC+61], s[sgprAlpha], v[vgprValuC+61] // *= alpha
v_mul_f32 v[vgprValuC+62], s[sgprAlpha], v[vgprValuC+62] // *= alpha
v_mul_f32 v[vgprValuC+63], s[sgprAlpha], v[vgprValuC+63] // *= alpha
v_mul_f32 v[vgprValuC+64], s[sgprAlpha], v[vgprValuC+64] // *= alpha
v_mul_f32 v[vgprValuC+65], s[sgprAlpha], v[vgprValuC+65] // *= alpha
v_mul_f32 v[vgprValuC+66], s[sgprAlpha], v[vgprValuC+66] // *= alpha
v_mul_f32 v[vgprValuC+67], s[sgprAlpha], v[vgprValuC+67] // *= alpha
v_mul_f32 v[vgprValuC+68], s[sgprAlpha], v[vgprValuC+68] // *= alpha
v_mul_f32 v[vgprValuC+69], s[sgprAlpha], v[vgprValuC+69] // *= alpha
v_mul_f32 v[vgprValuC+70], s[sgprAlpha], v[vgprValuC+70] // *= alpha
v_mul_f32 v[vgprValuC+71], s[sgprAlpha], v[vgprValuC+71] // *= alpha
v_mul_f32 v[vgprValuC+72], s[sgprAlpha], v[vgprValuC+72] // *= alpha
v_mul_f32 v[vgprValuC+73], s[sgprAlpha], v[vgprValuC+73] // *= alpha
v_mul_f32 v[vgprValuC+74], s[sgprAlpha], v[vgprValuC+74] // *= alpha
v_mul_f32 v[vgprValuC+75], s[sgprAlpha], v[vgprValuC+75] // *= alpha
v_mul_f32 v[vgprValuC+76], s[sgprAlpha], v[vgprValuC+76] // *= alpha
v_mul_f32 v[vgprValuC+77], s[sgprAlpha], v[vgprValuC+77] // *= alpha
v_mul_f32 v[vgprValuC+78], s[sgprAlpha], v[vgprValuC+78] // *= alpha
v_mul_f32 v[vgprValuC+79], s[sgprAlpha], v[vgprValuC+79] // *= alpha
v_mul_f32 v[vgprValuC+80], s[sgprAlpha], v[vgprValuC+80] // *= alpha
v_mul_f32 v[vgprValuC+81], s[sgprAlpha], v[vgprValuC+81] // *= alpha
v_mul_f32 v[vgprValuC+82], s[sgprAlpha], v[vgprValuC+82] // *= alpha
v_mul_f32 v[vgprValuC+83], s[sgprAlpha], v[vgprValuC+83] // *= alpha
v_mul_f32 v[vgprValuC+84], s[sgprAlpha], v[vgprValuC+84] // *= alpha
v_mul_f32 v[vgprValuC+85], s[sgprAlpha], v[vgprValuC+85] // *= alpha
v_mul_f32 v[vgprValuC+86], s[sgprAlpha], v[vgprValuC+86] // *= alpha
v_mul_f32 v[vgprValuC+87], s[sgprAlpha], v[vgprValuC+87] // *= alpha
v_mul_f32 v[vgprValuC+88], s[sgprAlpha], v[vgprValuC+88] // *= alpha
v_mul_f32 v[vgprValuC+89], s[sgprAlpha], v[vgprValuC+89] // *= alpha
v_mul_f32 v[vgprValuC+90], s[sgprAlpha], v[vgprValuC+90] // *= alpha
v_mul_f32 v[vgprValuC+91], s[sgprAlpha], v[vgprValuC+91] // *= alpha
v_mul_f32 v[vgprValuC+92], s[sgprAlpha], v[vgprValuC+92] // *= alpha
v_mul_f32 v[vgprValuC+93], s[sgprAlpha], v[vgprValuC+93] // *= alpha
v_mul_f32 v[vgprValuC+94], s[sgprAlpha], v[vgprValuC+94] // *= alpha
v_mul_f32 v[vgprValuC+95], s[sgprAlpha], v[vgprValuC+95] // *= alpha
v_mul_f32 v[vgprValuC+96], s[sgprAlpha], v[vgprValuC+96] // *= alpha
v_mul_f32 v[vgprValuC+97], s[sgprAlpha], v[vgprValuC+97] // *= alpha
v_mul_f32 v[vgprValuC+98], s[sgprAlpha], v[vgprValuC+98] // *= alpha
v_mul_f32 v[vgprValuC+99], s[sgprAlpha], v[vgprValuC+99] // *= alpha
v_mul_f32 v[vgprValuC+100], s[sgprAlpha], v[vgprValuC+100] // *= alpha
v_mul_f32 v[vgprValuC+101], s[sgprAlpha], v[vgprValuC+101] // *= alpha
v_mul_f32 v[vgprValuC+102], s[sgprAlpha], v[vgprValuC+102] // *= alpha
v_mul_f32 v[vgprValuC+103], s[sgprAlpha], v[vgprValuC+103] // *= alpha
v_mul_f32 v[vgprValuC+104], s[sgprAlpha], v[vgprValuC+104] // *= alpha
v_mul_f32 v[vgprValuC+105], s[sgprAlpha], v[vgprValuC+105] // *= alpha
v_mul_f32 v[vgprValuC+106], s[sgprAlpha], v[vgprValuC+106] // *= alpha
v_mul_f32 v[vgprValuC+107], s[sgprAlpha], v[vgprValuC+107] // *= alpha
v_mul_f32 v[vgprValuC+108], s[sgprAlpha], v[vgprValuC+108] // *= alpha
v_mul_f32 v[vgprValuC+109], s[sgprAlpha], v[vgprValuC+109] // *= alpha
v_mul_f32 v[vgprValuC+110], s[sgprAlpha], v[vgprValuC+110] // *= alpha
v_mul_f32 v[vgprValuC+111], s[sgprAlpha], v[vgprValuC+111] // *= alpha
v_mul_f32 v[vgprValuC+112], s[sgprAlpha], v[vgprValuC+112] // *= alpha
v_mul_f32 v[vgprValuC+113], s[sgprAlpha], v[vgprValuC+113] // *= alpha
v_mul_f32 v[vgprValuC+114], s[sgprAlpha], v[vgprValuC+114] // *= alpha
v_mul_f32 v[vgprValuC+115], s[sgprAlpha], v[vgprValuC+115] // *= alpha
v_mul_f32 v[vgprValuC+116], s[sgprAlpha], v[vgprValuC+116] // *= alpha
v_mul_f32 v[vgprValuC+117], s[sgprAlpha], v[vgprValuC+117] // *= alpha
v_mul_f32 v[vgprValuC+118], s[sgprAlpha], v[vgprValuC+118] // *= alpha
v_mul_f32 v[vgprValuC+119], s[sgprAlpha], v[vgprValuC+119] // *= alpha
v_mul_f32 v[vgprValuC+120], s[sgprAlpha], v[vgprValuC+120] // *= alpha
v_mul_f32 v[vgprValuC+121], s[sgprAlpha], v[vgprValuC+121] // *= alpha
v_mul_f32 v[vgprValuC+122], s[sgprAlpha], v[vgprValuC+122] // *= alpha
v_mul_f32 v[vgprValuC+123], s[sgprAlpha], v[vgprValuC+123] // *= alpha
v_mul_f32 v[vgprValuC+124], s[sgprAlpha], v[vgprValuC+124] // *= alpha
v_mul_f32 v[vgprValuC+125], s[sgprAlpha], v[vgprValuC+125] // *= alpha
v_mul_f32 v[vgprValuC+126], s[sgprAlpha], v[vgprValuC+126] // *= alpha
v_mul_f32 v[vgprValuC+127], s[sgprAlpha], v[vgprValuC+127] // *= alpha
v_mul_f32 v[vgprValuC+128], s[sgprAlpha], v[vgprValuC+128] // *= alpha
v_mul_f32 v[vgprValuC+129], s[sgprAlpha], v[vgprValuC+129] // *= alpha
v_mul_f32 v[vgprValuC+130], s[sgprAlpha], v[vgprValuC+130] // *= alpha
v_mul_f32 v[vgprValuC+131], s[sgprAlpha], v[vgprValuC+131] // *= alpha
v_mul_f32 v[vgprValuC+132], s[sgprAlpha], v[vgprValuC+132] // *= alpha
v_mul_f32 v[vgprValuC+133], s[sgprAlpha], v[vgprValuC+133] // *= alpha
v_mul_f32 v[vgprValuC+134], s[sgprAlpha], v[vgprValuC+134] // *= alpha
v_mul_f32 v[vgprValuC+135], s[sgprAlpha], v[vgprValuC+135] // *= alpha
v_mul_f32 v[vgprValuC+136], s[sgprAlpha], v[vgprValuC+136] // *= alpha
v_mul_f32 v[vgprValuC+137], s[sgprAlpha], v[vgprValuC+137] // *= alpha
v_mul_f32 v[vgprValuC+138], s[sgprAlpha], v[vgprValuC+138] // *= alpha
v_mul_f32 v[vgprValuC+139], s[sgprAlpha], v[vgprValuC+139] // *= alpha
v_mul_f32 v[vgprValuC+140], s[sgprAlpha], v[vgprValuC+140] // *= alpha
v_mul_f32 v[vgprValuC+141], s[sgprAlpha], v[vgprValuC+141] // *= alpha
v_mul_f32 v[vgprValuC+142], s[sgprAlpha], v[vgprValuC+142] // *= alpha
v_mul_f32 v[vgprValuC+143], s[sgprAlpha], v[vgprValuC+143] // *= alpha
v_mul_f32 v[vgprValuC+144], s[sgprAlpha], v[vgprValuC+144] // *= alpha
v_mul_f32 v[vgprValuC+145], s[sgprAlpha], v[vgprValuC+145] // *= alpha
v_mul_f32 v[vgprValuC+146], s[sgprAlpha], v[vgprValuC+146] // *= alpha
v_mul_f32 v[vgprValuC+147], s[sgprAlpha], v[vgprValuC+147] // *= alpha
v_mul_f32 v[vgprValuC+148], s[sgprAlpha], v[vgprValuC+148] // *= alpha
v_mul_f32 v[vgprValuC+149], s[sgprAlpha], v[vgprValuC+149] // *= alpha
v_mul_f32 v[vgprValuC+150], s[sgprAlpha], v[vgprValuC+150] // *= alpha
v_mul_f32 v[vgprValuC+151], s[sgprAlpha], v[vgprValuC+151] // *= alpha
v_mul_f32 v[vgprValuC+152], s[sgprAlpha], v[vgprValuC+152] // *= alpha
v_mul_f32 v[vgprValuC+153], s[sgprAlpha], v[vgprValuC+153] // *= alpha
v_mul_f32 v[vgprValuC+154], s[sgprAlpha], v[vgprValuC+154] // *= alpha
v_mul_f32 v[vgprValuC+155], s[sgprAlpha], v[vgprValuC+155] // *= alpha
v_mul_f32 v[vgprValuC+156], s[sgprAlpha], v[vgprValuC+156] // *= alpha
v_mul_f32 v[vgprValuC+157], s[sgprAlpha], v[vgprValuC+157] // *= alpha
v_mul_f32 v[vgprValuC+158], s[sgprAlpha], v[vgprValuC+158] // *= alpha
v_mul_f32 v[vgprValuC+159], s[sgprAlpha], v[vgprValuC+159] // *= alpha
v_mul_f32 v[vgprValuC+160], s[sgprAlpha], v[vgprValuC+160] // *= alpha
v_mul_f32 v[vgprValuC+161], s[sgprAlpha], v[vgprValuC+161] // *= alpha
v_mul_f32 v[vgprValuC+162], s[sgprAlpha], v[vgprValuC+162] // *= alpha
v_mul_f32 v[vgprValuC+163], s[sgprAlpha], v[vgprValuC+163] // *= alpha
v_mul_f32 v[vgprValuC+164], s[sgprAlpha], v[vgprValuC+164] // *= alpha
v_mul_f32 v[vgprValuC+165], s[sgprAlpha], v[vgprValuC+165] // *= alpha
v_mul_f32 v[vgprValuC+166], s[sgprAlpha], v[vgprValuC+166] // *= alpha
v_mul_f32 v[vgprValuC+167], s[sgprAlpha], v[vgprValuC+167] // *= alpha
v_mul_f32 v[vgprValuC+168], s[sgprAlpha], v[vgprValuC+168] // *= alpha
v_mul_f32 v[vgprValuC+169], s[sgprAlpha], v[vgprValuC+169] // *= alpha
v_mul_f32 v[vgprValuC+170], s[sgprAlpha], v[vgprValuC+170] // *= alpha
v_mul_f32 v[vgprValuC+171], s[sgprAlpha], v[vgprValuC+171] // *= alpha
v_mul_f32 v[vgprValuC+172], s[sgprAlpha], v[vgprValuC+172] // *= alpha
v_mul_f32 v[vgprValuC+173], s[sgprAlpha], v[vgprValuC+173] // *= alpha
v_mul_f32 v[vgprValuC+174], s[sgprAlpha], v[vgprValuC+174] // *= alpha
v_mul_f32 v[vgprValuC+175], s[sgprAlpha], v[vgprValuC+175] // *= alpha
v_mul_f32 v[vgprValuC+176], s[sgprAlpha], v[vgprValuC+176] // *= alpha
v_mul_f32 v[vgprValuC+177], s[sgprAlpha], v[vgprValuC+177] // *= alpha
v_mul_f32 v[vgprValuC+178], s[sgprAlpha], v[vgprValuC+178] // *= alpha
v_mul_f32 v[vgprValuC+179], s[sgprAlpha], v[vgprValuC+179] // *= alpha
v_mul_f32 v[vgprValuC+180], s[sgprAlpha], v[vgprValuC+180] // *= alpha
v_mul_f32 v[vgprValuC+181], s[sgprAlpha], v[vgprValuC+181] // *= alpha
v_mul_f32 v[vgprValuC+182], s[sgprAlpha], v[vgprValuC+182] // *= alpha
v_mul_f32 v[vgprValuC+183], s[sgprAlpha], v[vgprValuC+183] // *= alpha
v_mul_f32 v[vgprValuC+184], s[sgprAlpha], v[vgprValuC+184] // *= alpha
v_mul_f32 v[vgprValuC+185], s[sgprAlpha], v[vgprValuC+185] // *= alpha
v_mul_f32 v[vgprValuC+186], s[sgprAlpha], v[vgprValuC+186] // *= alpha
v_mul_f32 v[vgprValuC+187], s[sgprAlpha], v[vgprValuC+187] // *= alpha
v_mul_f32 v[vgprValuC+188], s[sgprAlpha], v[vgprValuC+188] // *= alpha
v_mul_f32 v[vgprValuC+189], s[sgprAlpha], v[vgprValuC+189] // *= alpha
v_mul_f32 v[vgprValuC+190], s[sgprAlpha], v[vgprValuC+190] // *= alpha
v_mul_f32 v[vgprValuC+191], s[sgprAlpha], v[vgprValuC+191] // *= alpha
v_mul_f32 v[vgprValuC+192], s[sgprAlpha], v[vgprValuC+192] // *= alpha
v_mul_f32 v[vgprValuC+193], s[sgprAlpha], v[vgprValuC+193] // *= alpha
v_mul_f32 v[vgprValuC+194], s[sgprAlpha], v[vgprValuC+194] // *= alpha
v_mul_f32 v[vgprValuC+195], s[sgprAlpha], v[vgprValuC+195] // *= alpha
v_mul_f32 v[vgprValuC+196], s[sgprAlpha], v[vgprValuC+196] // *= alpha
v_mul_f32 v[vgprValuC+197], s[sgprAlpha], v[vgprValuC+197] // *= alpha
v_mul_f32 v[vgprValuC+198], s[sgprAlpha], v[vgprValuC+198] // *= alpha
v_mul_f32 v[vgprValuC+199], s[sgprAlpha], v[vgprValuC+199] // *= alpha
v_mul_f32 v[vgprValuC+200], s[sgprAlpha], v[vgprValuC+200] // *= alpha
v_mul_f32 v[vgprValuC+201], s[sgprAlpha], v[vgprValuC+201] // *= alpha
v_mul_f32 v[vgprValuC+202], s[sgprAlpha], v[vgprValuC+202] // *= alpha
v_mul_f32 v[vgprValuC+203], s[sgprAlpha], v[vgprValuC+203] // *= alpha
v_mul_f32 v[vgprValuC+204], s[sgprAlpha], v[vgprValuC+204] // *= alpha
v_mul_f32 v[vgprValuC+205], s[sgprAlpha], v[vgprValuC+205] // *= alpha
v_mul_f32 v[vgprValuC+206], s[sgprAlpha], v[vgprValuC+206] // *= alpha
v_mul_f32 v[vgprValuC+207], s[sgprAlpha], v[vgprValuC+207] // *= alpha
v_mul_f32 v[vgprValuC+208], s[sgprAlpha], v[vgprValuC+208] // *= alpha
v_mul_f32 v[vgprValuC+209], s[sgprAlpha], v[vgprValuC+209] // *= alpha
v_mul_f32 v[vgprValuC+210], s[sgprAlpha], v[vgprValuC+210] // *= alpha
v_mul_f32 v[vgprValuC+211], s[sgprAlpha], v[vgprValuC+211] // *= alpha
v_mul_f32 v[vgprValuC+212], s[sgprAlpha], v[vgprValuC+212] // *= alpha
v_mul_f32 v[vgprValuC+213], s[sgprAlpha], v[vgprValuC+213] // *= alpha
v_mul_f32 v[vgprValuC+214], s[sgprAlpha], v[vgprValuC+214] // *= alpha
v_mul_f32 v[vgprValuC+215], s[sgprAlpha], v[vgprValuC+215] // *= alpha
v_mul_f32 v[vgprValuC+216], s[sgprAlpha], v[vgprValuC+216] // *= alpha
v_mul_f32 v[vgprValuC+217], s[sgprAlpha], v[vgprValuC+217] // *= alpha
v_mul_f32 v[vgprValuC+218], s[sgprAlpha], v[vgprValuC+218] // *= alpha
v_mul_f32 v[vgprValuC+219], s[sgprAlpha], v[vgprValuC+219] // *= alpha
v_mul_f32 v[vgprValuC+220], s[sgprAlpha], v[vgprValuC+220] // *= alpha
v_mul_f32 v[vgprValuC+221], s[sgprAlpha], v[vgprValuC+221] // *= alpha
v_mul_f32 v[vgprValuC+222], s[sgprAlpha], v[vgprValuC+222] // *= alpha
v_mul_f32 v[vgprValuC+223], s[sgprAlpha], v[vgprValuC+223] // *= alpha
v_mul_f32 v[vgprValuC+224], s[sgprAlpha], v[vgprValuC+224] // *= alpha
v_mul_f32 v[vgprValuC+225], s[sgprAlpha], v[vgprValuC+225] // *= alpha
v_mul_f32 v[vgprValuC+226], s[sgprAlpha], v[vgprValuC+226] // *= alpha
v_mul_f32 v[vgprValuC+227], s[sgprAlpha], v[vgprValuC+227] // *= alpha
v_mul_f32 v[vgprValuC+228], s[sgprAlpha], v[vgprValuC+228] // *= alpha
v_mul_f32 v[vgprValuC+229], s[sgprAlpha], v[vgprValuC+229] // *= alpha
v_mul_f32 v[vgprValuC+230], s[sgprAlpha], v[vgprValuC+230] // *= alpha
v_mul_f32 v[vgprValuC+231], s[sgprAlpha], v[vgprValuC+231] // *= alpha
v_mul_f32 v[vgprValuC+232], s[sgprAlpha], v[vgprValuC+232] // *= alpha
v_mul_f32 v[vgprValuC+233], s[sgprAlpha], v[vgprValuC+233] // *= alpha
v_mul_f32 v[vgprValuC+234], s[sgprAlpha], v[vgprValuC+234] // *= alpha
v_mul_f32 v[vgprValuC+235], s[sgprAlpha], v[vgprValuC+235] // *= alpha
v_mul_f32 v[vgprValuC+236], s[sgprAlpha], v[vgprValuC+236] // *= alpha
v_mul_f32 v[vgprValuC+237], s[sgprAlpha], v[vgprValuC+237] // *= alpha
v_mul_f32 v[vgprValuC+238], s[sgprAlpha], v[vgprValuC+238] // *= alpha
v_mul_f32 v[vgprValuC+239], s[sgprAlpha], v[vgprValuC+239] // *= alpha
v_mul_f32 v[vgprValuC+240], s[sgprAlpha], v[vgprValuC+240] // *= alpha
v_mul_f32 v[vgprValuC+241], s[sgprAlpha], v[vgprValuC+241] // *= alpha
v_mul_f32 v[vgprValuC+242], s[sgprAlpha], v[vgprValuC+242] // *= alpha
v_mul_f32 v[vgprValuC+243], s[sgprAlpha], v[vgprValuC+243] // *= alpha
v_mul_f32 v[vgprValuC+244], s[sgprAlpha], v[vgprValuC+244] // *= alpha
v_mul_f32 v[vgprValuC+245], s[sgprAlpha], v[vgprValuC+245] // *= alpha
v_mul_f32 v[vgprValuC+246], s[sgprAlpha], v[vgprValuC+246] // *= alpha
v_mul_f32 v[vgprValuC+247], s[sgprAlpha], v[vgprValuC+247] // *= alpha
v_mul_f32 v[vgprValuC+248], s[sgprAlpha], v[vgprValuC+248] // *= alpha
v_mul_f32 v[vgprValuC+249], s[sgprAlpha], v[vgprValuC+249] // *= alpha
v_mul_f32 v[vgprValuC+250], s[sgprAlpha], v[vgprValuC+250] // *= alpha
v_mul_f32 v[vgprValuC+251], s[sgprAlpha], v[vgprValuC+251] // *= alpha
v_mul_f32 v[vgprValuC+252], s[sgprAlpha], v[vgprValuC+252] // *= alpha
v_mul_f32 v[vgprValuC+253], s[sgprAlpha], v[vgprValuC+253] // *= alpha
v_mul_f32 v[vgprValuC+254], s[sgprAlpha], v[vgprValuC+254] // *= alpha
v_mul_f32 v[vgprValuC+255], s[sgprAlpha], v[vgprValuC+255] // *= alpha

/* apply mask, calc new C and issue writes */
_buffer_store_b128 v[8:11], v6, s[sgprSrdD:sgprSrdD+3], 0, offen, offset:0 // store D
s_lshl_b32  s54, s[sgprStrideD1J], 2               // incToNextRow: Scale by BPE
s_add_u32  s[sgprSrdD+0], s[sgprSrdD+0], s54       // incToNextRow: gra SRD += inc(lower)
s_addc_u32  s[sgprSrdD+1], s[sgprSrdD+1], 0        // incToNextRow: gra SRD += inc(upper)
_buffer_store_b128 v[12:15], v6, s[sgprSrdD:sgprSrdD+3], 0, offen, offset:0 // store D
s_lshl_b32  s54, s[sgprStrideD1J], 2               // incToNextRow: Scale by BPE
s_add_u32  s[sgprSrdD+0], s[sgprSrdD+0], s54       // incToNextRow: gra SRD += inc(lower)
s_addc_u32  s[sgprSrdD+1], s[sgprSrdD+1], 0        // incToNextRow: gra SRD += inc(upper)
_buffer_store_b128 v[16:19], v6, s[sgprSrdD:sgprSrdD+3], 0, offen, offset:0 // store D
s_lshl_b32  s54, s[sgprStrideD1J], 2               // incToNextRow: Scale by BPE
s_add_u32  s[sgprSrdD+0], s[sgprSrdD+0], s54       // incToNextRow: gra SRD += inc(lower)
s_addc_u32  s[sgprSrdD+1], s[sgprSrdD+1], 0        // incToNextRow: gra SRD += inc(upper)
_buffer_store_b128 v[20:23], v6, s[sgprSrdD:sgprSrdD+3], 0, offen, offset:0 // store D
s_lshl_b32  s54, s[sgprStrideD1J], 2               // incToNextRow: Scale by BPE
s_add_u32  s[sgprSrdD+0], s[sgprSrdD+0], s54       // incToNextRow: gra SRD += inc(lower)
s_addc_u32  s[sgprSrdD+1], s[sgprSrdD+1], 0        // incToNextRow: gra SRD += inc(upper)
_buffer_store_b128 v[24:27], v6, s[sgprSrdD:sgprSrdD+3], 0, offen, offset:0 // store D
s_lshl_b32  s54, s[sgprStrideD1J], 2               // incToNextRow: Scale by BPE
s_add_u32  s[sgprSrdD+0], s[sgprSrdD+0], s54       // incToNextRow: gra SRD += inc(lower)
s_addc_u32  s[sgprSrdD+1], s[sgprSrdD+1], 0        // incToNextRow: gra SRD += inc(upper)
_buffer_store_b128 v[28:31], v6, s[sgprSrdD:sgprSrdD+3], 0, offen, offset:0 // store D
s_lshl_b32  s54, s[sgprStrideD1J], 2               // incToNextRow: Scale by BPE
s_add_u32  s[sgprSrdD+0], s[sgprSrdD+0], s54       // incToNextRow: gra SRD += inc(lower)
s_addc_u32  s[sgprSrdD+1], s[sgprSrdD+1], 0        // incToNextRow: gra SRD += inc(upper)
_buffer_store_b128 v[32:35], v6, s[sgprSrdD:sgprSrdD+3], 0, offen, offset:0 // store D
s_lshl_b32  s54, s[sgprStrideD1J], 2               // incToNextRow: Scale by BPE
s_add_u32  s[sgprSrdD+0], s[sgprSrdD+0], s54       // incToNextRow: gra SRD += inc(lower)
s_addc_u32  s[sgprSrdD+1], s[sgprSrdD+1], 0        // incToNextRow: gra SRD += inc(upper)
_buffer_store_b128 v[36:39], v6, s[sgprSrdD:sgprSrdD+3], 0, offen, offset:0 // store D
s_mul_i32 s54, s[sgprStrideD1J], 36                // scale StrideD *= numRows(9) * bpe
s_add_u32  s[sgprSrdD+0], s[sgprSrdD+0], s54       // incToNextRow: gra SRD += inc(lower)
s_addc_u32  s[sgprSrdD+1], s[sgprSrdD+1], 0        // incToNextRow: gra SRD += inc(upper)
_buffer_store_b128 v[40:43], v6, s[sgprSrdD:sgprSrdD+3], 0, offen, offset:0 // store D
s_lshl_b32  s54, s[sgprStrideD1J], 2               // incToNextRow: Scale by BPE
s_add_u32  s[sgprSrdD+0], s[sgprSrdD+0], s54       // incToNextRow: gra SRD += inc(lower)
s_addc_u32  s[sgprSrdD+1], s[sgprSrdD+1], 0        // incToNextRow: gra SRD += inc(upper)
_buffer_store_b128 v[44:47], v6, s[sgprSrdD:sgprSrdD+3], 0, offen, offset:0 // store D
s_lshl_b32  s54, s[sgprStrideD1J], 2               // incToNextRow: Scale by BPE
s_add_u32  s[sgprSrdD+0], s[sgprSrdD+0], s54       // incToNextRow: gra SRD += inc(lower)
s_addc_u32  s[sgprSrdD+1], s[sgprSrdD+1], 0        // incToNextRow: gra SRD += inc(upper)
_buffer_store_b128 v[48:51], v6, s[sgprSrdD:sgprSrdD+3], 0, offen, offset:0 // store D
s_lshl_b32  s54, s[sgprStrideD1J], 2               // incToNextRow: Scale by BPE
s_add_u32  s[sgprSrdD+0], s[sgprSrdD+0], s54       // incToNextRow: gra SRD += inc(lower)
s_addc_u32  s[sgprSrdD+1], s[sgprSrdD+1], 0        // incToNextRow: gra SRD += inc(upper)
_buffer_store_b128 v[60:63], v6, s[sgprSrdD:sgprSrdD+3], 0, offen, offset:0 // store D
s_lshl_b32  s54, s[sgprStrideD1J], 2               // incToNextRow: Scale by BPE
s_add_u32  s[sgprSrdD+0], s[sgprSrdD+0], s54       // incToNextRow: gra SRD += inc(lower)
s_addc_u32  s[sgprSrdD+1], s[sgprSrdD+1], 0        // incToNextRow: gra SRD += inc(upper)
_buffer_store_b128 v[64:67], v6, s[sgprSrdD:sgprSrdD+3], 0, offen, offset:0 // store D
s_lshl_b32  s54, s[sgprStrideD1J], 2               // incToNextRow: Scale by BPE
s_add_u32  s[sgprSrdD+0], s[sgprSrdD+0], s54       // incToNextRow: gra SRD += inc(lower)
s_addc_u32  s[sgprSrdD+1], s[sgprSrdD+1], 0        // incToNextRow: gra SRD += inc(upper)
_buffer_store_b128 v[68:71], v6, s[sgprSrdD:sgprSrdD+3], 0, offen, offset:0 // store D
s_lshl_b32  s54, s[sgprStrideD1J], 2               // incToNextRow: Scale by BPE
s_add_u32  s[sgprSrdD+0], s[sgprSrdD+0], s54       // incToNextRow: gra SRD += inc(lower)
s_addc_u32  s[sgprSrdD+1], s[sgprSrdD+1], 0        // incToNextRow: gra SRD += inc(upper)
_buffer_store_b128 v[72:75], v6, s[sgprSrdD:sgprSrdD+3], 0, offen, offset:0 // store D
s_lshl_b32  s54, s[sgprStrideD1J], 2               // incToNextRow: Scale by BPE
s_add_u32  s[sgprSrdD+0], s[sgprSrdD+0], s54       // incToNextRow: gra SRD += inc(lower)
s_addc_u32  s[sgprSrdD+1], s[sgprSrdD+1], 0        // incToNextRow: gra SRD += inc(upper)
_buffer_store_b128 v[76:79], v6, s[sgprSrdD:sgprSrdD+3], 0, offen, offset:0 // store D
s_mul_i32 s54, s[sgprStrideD1J], 36                // scale StrideD *= numRows(9) * bpe
s_add_u32  s[sgprSrdD+0], s[sgprSrdD+0], s54       // incToNextRow: gra SRD += inc(lower)
s_addc_u32  s[sgprSrdD+1], s[sgprSrdD+1], 0        // incToNextRow: gra SRD += inc(upper)
	;; [unrolled: 32-line block ×3, first 2 shown]
_buffer_store_b128 v[112:115], v6, s[sgprSrdD:sgprSrdD+3], 0, offen, offset:0 // store D
s_lshl_b32  s54, s[sgprStrideD1J], 2               // incToNextRow: Scale by BPE
s_add_u32  s[sgprSrdD+0], s[sgprSrdD+0], s54       // incToNextRow: gra SRD += inc(lower)
s_addc_u32  s[sgprSrdD+1], s[sgprSrdD+1], 0        // incToNextRow: gra SRD += inc(upper)
_buffer_store_b128 v[116:119], v6, s[sgprSrdD:sgprSrdD+3], 0, offen, offset:0 // store D
s_lshl_b32  s54, s[sgprStrideD1J], 2               // incToNextRow: Scale by BPE
s_add_u32  s[sgprSrdD+0], s[sgprSrdD+0], s54       // incToNextRow: gra SRD += inc(lower)
s_addc_u32  s[sgprSrdD+1], s[sgprSrdD+1], 0        // incToNextRow: gra SRD += inc(upper)
	;; [unrolled: 4-line block ×7, first 2 shown]
_buffer_store_b128 v[140:143], v6, s[sgprSrdD:sgprSrdD+3], 0, offen, offset:0 // store D
s_mul_i32 s54, s[sgprStrideD1J], 292               // scale StrideD *= numRows(73) * bpe
s_add_u32  s[sgprSrdD+0], s[sgprSrdD+0], s54       // incToNextRow: gra SRD += inc(lower)
s_addc_u32  s[sgprSrdD+1], s[sgprSrdD+1], 0        // incToNextRow: gra SRD += inc(upper)
_buffer_store_b128 v[144:147], v6, s[sgprSrdD:sgprSrdD+3], 0, offen, offset:0 // store D
s_lshl_b32  s54, s[sgprStrideD1J], 2               // incToNextRow: Scale by BPE
s_add_u32  s[sgprSrdD+0], s[sgprSrdD+0], s54       // incToNextRow: gra SRD += inc(lower)
s_addc_u32  s[sgprSrdD+1], s[sgprSrdD+1], 0        // incToNextRow: gra SRD += inc(upper)
_buffer_store_b128 v[148:151], v6, s[sgprSrdD:sgprSrdD+3], 0, offen, offset:0 // store D
s_lshl_b32  s54, s[sgprStrideD1J], 2               // incToNextRow: Scale by BPE
s_add_u32  s[sgprSrdD+0], s[sgprSrdD+0], s54       // incToNextRow: gra SRD += inc(lower)
s_addc_u32  s[sgprSrdD+1], s[sgprSrdD+1], 0        // incToNextRow: gra SRD += inc(upper)
_buffer_store_b128 v[152:155], v6, s[sgprSrdD:sgprSrdD+3], 0, offen, offset:0 // store D
s_lshl_b32  s54, s[sgprStrideD1J], 2               // incToNextRow: Scale by BPE
s_add_u32  s[sgprSrdD+0], s[sgprSrdD+0], s54       // incToNextRow: gra SRD += inc(lower)
s_addc_u32  s[sgprSrdD+1], s[sgprSrdD+1], 0        // incToNextRow: gra SRD += inc(upper)
_buffer_store_b128 v[156:159], v6, s[sgprSrdD:sgprSrdD+3], 0, offen, offset:0 // store D
s_lshl_b32  s54, s[sgprStrideD1J], 2               // incToNextRow: Scale by BPE
s_add_u32  s[sgprSrdD+0], s[sgprSrdD+0], s54       // incToNextRow: gra SRD += inc(lower)
s_addc_u32  s[sgprSrdD+1], s[sgprSrdD+1], 0        // incToNextRow: gra SRD += inc(upper)
_buffer_store_b128 v[160:163], v6, s[sgprSrdD:sgprSrdD+3], 0, offen, offset:0 // store D
s_lshl_b32  s54, s[sgprStrideD1J], 2               // incToNextRow: Scale by BPE
s_add_u32  s[sgprSrdD+0], s[sgprSrdD+0], s54       // incToNextRow: gra SRD += inc(lower)
s_addc_u32  s[sgprSrdD+1], s[sgprSrdD+1], 0        // incToNextRow: gra SRD += inc(upper)
_buffer_store_b128 v[164:167], v6, s[sgprSrdD:sgprSrdD+3], 0, offen, offset:0 // store D
s_lshl_b32  s54, s[sgprStrideD1J], 2               // incToNextRow: Scale by BPE
s_add_u32  s[sgprSrdD+0], s[sgprSrdD+0], s54       // incToNextRow: gra SRD += inc(lower)
s_addc_u32  s[sgprSrdD+1], s[sgprSrdD+1], 0        // incToNextRow: gra SRD += inc(upper)
_buffer_store_b128 v[168:171], v6, s[sgprSrdD:sgprSrdD+3], 0, offen, offset:0 // store D
s_lshl_b32  s54, s[sgprStrideD1J], 2               // incToNextRow: Scale by BPE
s_add_u32  s[sgprSrdD+0], s[sgprSrdD+0], s54       // incToNextRow: gra SRD += inc(lower)
s_addc_u32  s[sgprSrdD+1], s[sgprSrdD+1], 0        // incToNextRow: gra SRD += inc(upper)
_buffer_store_b128 v[172:175], v6, s[sgprSrdD:sgprSrdD+3], 0, offen, offset:0 // store D
s_mul_i32 s54, s[sgprStrideD1J], 36                // scale StrideD *= numRows(9) * bpe
s_add_u32  s[sgprSrdD+0], s[sgprSrdD+0], s54       // incToNextRow: gra SRD += inc(lower)
s_addc_u32  s[sgprSrdD+1], s[sgprSrdD+1], 0        // incToNextRow: gra SRD += inc(upper)
_buffer_store_b128 v[176:179], v6, s[sgprSrdD:sgprSrdD+3], 0, offen, offset:0 // store D
s_lshl_b32  s54, s[sgprStrideD1J], 2               // incToNextRow: Scale by BPE
s_add_u32  s[sgprSrdD+0], s[sgprSrdD+0], s54       // incToNextRow: gra SRD += inc(lower)
s_addc_u32  s[sgprSrdD+1], s[sgprSrdD+1], 0        // incToNextRow: gra SRD += inc(upper)
_buffer_store_b128 v[180:183], v6, s[sgprSrdD:sgprSrdD+3], 0, offen, offset:0 // store D
s_lshl_b32  s54, s[sgprStrideD1J], 2               // incToNextRow: Scale by BPE
s_add_u32  s[sgprSrdD+0], s[sgprSrdD+0], s54       // incToNextRow: gra SRD += inc(lower)
s_addc_u32  s[sgprSrdD+1], s[sgprSrdD+1], 0        // incToNextRow: gra SRD += inc(upper)
_buffer_store_b128 v[184:187], v6, s[sgprSrdD:sgprSrdD+3], 0, offen, offset:0 // store D
s_lshl_b32  s54, s[sgprStrideD1J], 2               // incToNextRow: Scale by BPE
s_add_u32  s[sgprSrdD+0], s[sgprSrdD+0], s54       // incToNextRow: gra SRD += inc(lower)
s_addc_u32  s[sgprSrdD+1], s[sgprSrdD+1], 0        // incToNextRow: gra SRD += inc(upper)
_buffer_store_b128 v[188:191], v6, s[sgprSrdD:sgprSrdD+3], 0, offen, offset:0 // store D
s_lshl_b32  s54, s[sgprStrideD1J], 2               // incToNextRow: Scale by BPE
s_add_u32  s[sgprSrdD+0], s[sgprSrdD+0], s54       // incToNextRow: gra SRD += inc(lower)
s_addc_u32  s[sgprSrdD+1], s[sgprSrdD+1], 0        // incToNextRow: gra SRD += inc(upper)
_buffer_store_b128 v[192:195], v6, s[sgprSrdD:sgprSrdD+3], 0, offen, offset:0 // store D
s_lshl_b32  s54, s[sgprStrideD1J], 2               // incToNextRow: Scale by BPE
s_add_u32  s[sgprSrdD+0], s[sgprSrdD+0], s54       // incToNextRow: gra SRD += inc(lower)
s_addc_u32  s[sgprSrdD+1], s[sgprSrdD+1], 0        // incToNextRow: gra SRD += inc(upper)
_buffer_store_b128 v[196:199], v6, s[sgprSrdD:sgprSrdD+3], 0, offen, offset:0 // store D
s_lshl_b32  s54, s[sgprStrideD1J], 2               // incToNextRow: Scale by BPE
s_add_u32  s[sgprSrdD+0], s[sgprSrdD+0], s54       // incToNextRow: gra SRD += inc(lower)
s_addc_u32  s[sgprSrdD+1], s[sgprSrdD+1], 0        // incToNextRow: gra SRD += inc(upper)
_buffer_store_b128 v[200:203], v6, s[sgprSrdD:sgprSrdD+3], 0, offen, offset:0 // store D
s_lshl_b32  s54, s[sgprStrideD1J], 2               // incToNextRow: Scale by BPE
s_add_u32  s[sgprSrdD+0], s[sgprSrdD+0], s54       // incToNextRow: gra SRD += inc(lower)
s_addc_u32  s[sgprSrdD+1], s[sgprSrdD+1], 0        // incToNextRow: gra SRD += inc(upper)
_buffer_store_b128 v[204:207], v6, s[sgprSrdD:sgprSrdD+3], 0, offen, offset:0 // store D
s_mul_i32 s54, s[sgprStrideD1J], 36                // scale StrideD *= numRows(9) * bpe
	;; [unrolled: 32-line block ×3, first 2 shown]
s_add_u32  s[sgprSrdD+0], s[sgprSrdD+0], s54       // incToNextRow: gra SRD += inc(lower)
s_addc_u32  s[sgprSrdD+1], s[sgprSrdD+1], 0        // incToNextRow: gra SRD += inc(upper)
_buffer_store_b128 v[240:243], v6, s[sgprSrdD:sgprSrdD+3], 0, offen, offset:0 // store D
s_lshl_b32  s54, s[sgprStrideD1J], 2               // incToNextRow: Scale by BPE
s_add_u32  s[sgprSrdD+0], s[sgprSrdD+0], s54       // incToNextRow: gra SRD += inc(lower)
s_addc_u32  s[sgprSrdD+1], s[sgprSrdD+1], 0        // incToNextRow: gra SRD += inc(upper)
_buffer_store_b128 v[244:247], v6, s[sgprSrdD:sgprSrdD+3], 0, offen, offset:0 // store D
s_lshl_b32  s54, s[sgprStrideD1J], 2               // incToNextRow: Scale by BPE
	;; [unrolled: 4-line block ×3, first 2 shown]
s_add_u32  s[sgprSrdD+0], s[sgprSrdD+0], s54       // incToNextRow: gra SRD += inc(lower)
s_addc_u32  s[sgprSrdD+1], s[sgprSrdD+1], 0        // incToNextRow: gra SRD += inc(upper)
_buffer_store_b128 v[252:255], v6, s[sgprSrdD:sgprSrdD+3], 0, offen, offset:0 // store D
s_nop 0                                            // 1 wait state required when next inst writes vgprs held by previous dwordx4 store inst
/* optSingleColVgpr=1 optSharedColVgpr=0 optSGPRUsage=BufferLoad_Mask optSrdIncForRow=1 */

/******************************************/
/* Global Write Alpha Batch #1 (d1,d0,vc1,vc0) = */
/*    (7,0,4,0:vw4); (7,0,5,0:vw4); (7,0,6,0:vw4); (7,0,7,0:vw4) */
/******************************************/

/* calc coords, apply mask, and issue loads (if necessary) */
/* (d1,vc1,d0,vc0)=(7,4,0,0) */
/* (d1,vc1,d0,vc0)=(7,5,0,0) */
	;; [unrolled: 1-line block ×4, first 2 shown]
v_accvgpr_read_b32 v[vgprValuC+8], acc142 // copy acc to vreg[240]
v_accvgpr_read_b32 v[vgprValuC+9], acc158 // copy acc to vreg[241]
v_accvgpr_read_b32 v[vgprValuC+10], acc174 // copy acc to vreg[242]
v_accvgpr_read_b32 v[vgprValuC+11], acc190 // copy acc to vreg[243]
v_accvgpr_read_b32 v[vgprValuC+12], acc206 // copy acc to vreg[244]
v_accvgpr_read_b32 v[vgprValuC+13], acc222 // copy acc to vreg[245]
v_accvgpr_read_b32 v[vgprValuC+14], acc238 // copy acc to vreg[246]
v_accvgpr_read_b32 v[vgprValuC+15], acc254 // copy acc to vreg[247]
v_accvgpr_read_b32 v[vgprValuC+16], acc143 // copy acc to vreg[248]
v_accvgpr_read_b32 v[vgprValuC+17], acc159 // copy acc to vreg[249]
v_accvgpr_read_b32 v[vgprValuC+18], acc175 // copy acc to vreg[250]
v_accvgpr_read_b32 v[vgprValuC+19], acc191 // copy acc to vreg[251]
v_accvgpr_read_b32 v[vgprValuC+20], acc207 // copy acc to vreg[252]
v_accvgpr_read_b32 v[vgprValuC+21], acc223 // copy acc to vreg[253]
v_accvgpr_read_b32 v[vgprValuC+22], acc239 // copy acc to vreg[254]
v_accvgpr_read_b32 v[vgprValuC+23], acc255 // copy acc to vreg[255]
s_nop 1                                            // 2 wait states required before reading vgpr

/* rC *= alpha batchElements=[(7, 0, 4, 0), (7, 0, 5, 0), (7, 0, 6, 0), (7, 0, 7, 0)] */
v_mul_f32 v[vgprValuC+8], s[sgprAlpha], v[vgprValuC+8] // *= alpha
v_mul_f32 v[vgprValuC+9], s[sgprAlpha], v[vgprValuC+9] // *= alpha
	;; [unrolled: 1-line block ×16, first 2 shown]

/* apply mask, calc new C and issue writes */
s_lshl_b32  s54, s[sgprStrideD1J], 2               // incToNextRow: Scale by BPE
s_add_u32  s[sgprSrdD+0], s[sgprSrdD+0], s54       // incToNextRow: gra SRD += inc(lower)
s_addc_u32  s[sgprSrdD+1], s[sgprSrdD+1], 0        // incToNextRow: gra SRD += inc(upper)
_buffer_store_b128 v[8:11], v6, s[sgprSrdD:sgprSrdD+3], 0, offen, offset:0 // store D
s_lshl_b32  s54, s[sgprStrideD1J], 2               // incToNextRow: Scale by BPE
s_add_u32  s[sgprSrdD+0], s[sgprSrdD+0], s54       // incToNextRow: gra SRD += inc(lower)
s_addc_u32  s[sgprSrdD+1], s[sgprSrdD+1], 0        // incToNextRow: gra SRD += inc(upper)
_buffer_store_b128 v[12:15], v6, s[sgprSrdD:sgprSrdD+3], 0, offen, offset:0 // store D
	;; [unrolled: 4-line block ×4, first 2 shown]
s_nop 0                                            // 1 wait state required when next inst writes vgprs held by previous dwordx4 store inst
s_branch label_GW_End_178                          // jump to end
GW_B0_E1_170:

/* edge=1, allocate 6 sgpr. perBatchTmpS=4 perBatchMaskS=2 perElementMaskS=0 elementsPerBatch=48 */
/* optSingleColVgpr=0 optSharedColVgpr=0 optSGPRUsage=BufferLoad_Edge_Mask optSrdIncForRow=0 */

/******************************************/
/* Global Write Alpha Edge Batch #0 (d1,d0,vc1,vc0) = */
/*    (0,0,0,0:vw4); (0,0,1,0:vw4); (0,0,2,0:vw4); (0,0,3,0:vw4); (0,0,4,0:vw4); (0,0,5,0:vw4); (0,0,6,0:vw4); (0,0,7,0:vw4); (1,0,0,0:vw4); (1,0,1,0:vw4); (1,0,2,0:vw4); (1,0,3,0:vw4); (1,0,4,0:vw4); (1,0,5,0:vw4); (1,0,6,0:vw4); (1,0,7,0:vw4); (2,0,0,0:vw4); (2,0,1,0:vw4); (2,0,2,0:vw4); (2,0,3,0:vw4); (2,0,4,0:vw4); (2,0,5,0:vw4); (2,0,6,0:vw4); (2,0,7,0:vw4); (3,0,0,0:vw4); (3,0,1,0:vw4); (3,0,2,0:vw4); (3,0,3,0:vw4); (3,0,4,0:vw4); (3,0,5,0:vw4); (3,0,6,0:vw4); (3,0,7,0:vw4); (4,0,0,0:vw4); (4,0,1,0:vw4); (4,0,2,0:vw4); (4,0,3,0:vw4); (4,0,4,0:vw4); (4,0,5,0:vw4); (4,0,6,0:vw4); (4,0,7,0:vw4); (5,0,0,0:vw4); (5,0,1,0:vw4); (5,0,2,0:vw4); (5,0,3,0:vw4); (5,0,4,0:vw4); (5,0,5,0:vw4); (5,0,6,0:vw4); (5,0,7,0:vw4) */
/******************************************/

/* calc coords, apply mask, and issue loads (if necessary) */
/* (d1,vc1,d0,vc0)=(0,0,0,0) */
v_cmp_lt_u32 s[54:55], v0, s[sgprSizeI]            // coord0 < size0
v_cmp_lt_u32 s[58:59], v1, s[sgprSizeJ]            // coord1 < size1
s_and_b64 s[58:59], s[54:55], s[58:59]             // in0 && in1
_v_add_lshl_u32 v6, v3, v0, 0x2                    // scaleToBpe: accumulate d0 lower and *= bpe into Cin addr
v_cndmask_b32 v6, -1, v6, s[58:59]                 // LDD clip if OOB. offset
/* (d1,vc1,d0,vc0)=(0,1,0,0) */
_v_add_co_u32 v1, vcc, v1, 1                       // coord1.1: coord1Vgpr += d1*sg1*VW + vc1

/* Fix for UseInitialStridesCD, emitAddressSetupCode */
_v_add_u32 v2, v2, s[sgprStrideC1J]                // ROWINC- Move cinRowPtr to next row
_v_add_u32 v3, v3, s[sgprStrideD1J]                // Move coutRowPtr to next row
v_cmp_lt_u32 s[54:55], v0, s[sgprSizeI]            // coord0 < size0
v_cmp_lt_u32 s[58:59], v1, s[sgprSizeJ]            // coord1 < size1
s_and_b64 s[58:59], s[54:55], s[58:59]             // in0 && in1
_v_add_lshl_u32 v7, v3, v0, 0x2                    // scaleToBpe: accumulate d0 lower and *= bpe into Cin addr
v_cndmask_b32 v7, -1, v7, s[58:59]                 // LDD clip if OOB. offset
/* (d1,vc1,d0,vc0)=(0,2,0,0) */
_v_add_co_u32 v1, vcc, v1, 1                       // coord1.1: coord1Vgpr += d1*sg1*VW + vc1

/* Fix for UseInitialStridesCD, emitAddressSetupCode */
_v_add_u32 v2, v2, s[sgprStrideC1J]                // ROWINC- Move cinRowPtr to next row
_v_add_u32 v3, v3, s[sgprStrideD1J]                // Move coutRowPtr to next row
v_cmp_lt_u32 s[54:55], v0, s[sgprSizeI]            // coord0 < size0
v_cmp_lt_u32 s[58:59], v1, s[sgprSizeJ]            // coord1 < size1
s_and_b64 s[58:59], s[54:55], s[58:59]             // in0 && in1
_v_add_lshl_u32 v16, v3, v0, 0x2                   // scaleToBpe: accumulate d0 lower and *= bpe into Cin addr
v_cndmask_b32 v16, -1, v16, s[58:59]               // LDD clip if OOB. offset
/* (d1,vc1,d0,vc0)=(0,3,0,0) */
_v_add_co_u32 v1, vcc, v1, 1                       // coord1.1: coord1Vgpr += d1*sg1*VW + vc1

/* Fix for UseInitialStridesCD, emitAddressSetupCode */
_v_add_u32 v2, v2, s[sgprStrideC1J]                // ROWINC- Move cinRowPtr to next row
_v_add_u32 v3, v3, s[sgprStrideD1J]                // Move coutRowPtr to next row
v_cmp_lt_u32 s[54:55], v0, s[sgprSizeI]            // coord0 < size0
v_cmp_lt_u32 s[58:59], v1, s[sgprSizeJ]            // coord1 < size1
s_and_b64 s[58:59], s[54:55], s[58:59]             // in0 && in1
_v_add_lshl_u32 v17, v3, v0, 0x2                   // scaleToBpe: accumulate d0 lower and *= bpe into Cin addr
v_cndmask_b32 v17, -1, v17, s[58:59]               // LDD clip if OOB. offset
	;; [unrolled: 11-line block ×6, first 2 shown]
/* (d1,vc1,d0,vc0)=(1,0,0,0) */
_v_add_co_u32 v1, vcc, v1, 9                       // coord1.1: coord1Vgpr += d1*sg1*VW + vc1

/* Fix for UseInitialStridesCD, emitAddressSetupCode */
s_mul_i32 s54, s[sgprStrideC1J], 9                 // scale stride
_v_add_u32 v2, v2, s54                             // ROWINC- Move cinRowPtr to next row
s_mul_i32 s54, s[sgprStrideD1J], 9                 // scale stride
_v_add_u32 v3, v3, s54                             // Move coutRowPtr to next row
v_cmp_lt_u32 s[54:55], v0, s[sgprSizeI]            // coord0 < size0
v_cmp_lt_u32 s[58:59], v1, s[sgprSizeJ]            // coord1 < size1
s_and_b64 s[58:59], s[54:55], s[58:59]             // in0 && in1
_v_add_lshl_u32 v38, v3, v0, 0x2                   // scaleToBpe: accumulate d0 lower and *= bpe into Cin addr
v_cndmask_b32 v38, -1, v38, s[58:59]               // LDD clip if OOB. offset
/* (d1,vc1,d0,vc0)=(1,1,0,0) */
_v_add_co_u32 v1, vcc, v1, 1                       // coord1.1: coord1Vgpr += d1*sg1*VW + vc1

/* Fix for UseInitialStridesCD, emitAddressSetupCode */
_v_add_u32 v2, v2, s[sgprStrideC1J]                // ROWINC- Move cinRowPtr to next row
_v_add_u32 v3, v3, s[sgprStrideD1J]                // Move coutRowPtr to next row
v_cmp_lt_u32 s[54:55], v0, s[sgprSizeI]            // coord0 < size0
v_cmp_lt_u32 s[58:59], v1, s[sgprSizeJ]            // coord1 < size1
s_and_b64 s[58:59], s[54:55], s[58:59]             // in0 && in1
_v_add_lshl_u32 v39, v3, v0, 0x2                   // scaleToBpe: accumulate d0 lower and *= bpe into Cin addr
v_cndmask_b32 v39, -1, v39, s[58:59]               // LDD clip if OOB. offset
/* (d1,vc1,d0,vc0)=(1,2,0,0) */
_v_add_co_u32 v1, vcc, v1, 1                       // coord1.1: coord1Vgpr += d1*sg1*VW + vc1

/* Fix for UseInitialStridesCD, emitAddressSetupCode */
_v_add_u32 v2, v2, s[sgprStrideC1J]                // ROWINC- Move cinRowPtr to next row
_v_add_u32 v3, v3, s[sgprStrideD1J]                // Move coutRowPtr to next row
	;; [unrolled: 11-line block ×7, first 2 shown]
v_cmp_lt_u32 s[54:55], v0, s[sgprSizeI]            // coord0 < size0
v_cmp_lt_u32 s[58:59], v1, s[sgprSizeJ]            // coord1 < size1
s_and_b64 s[58:59], s[54:55], s[58:59]             // in0 && in1
_v_add_lshl_u32 v84, v3, v0, 0x2                   // scaleToBpe: accumulate d0 lower and *= bpe into Cin addr
v_cndmask_b32 v84, -1, v84, s[58:59]               // LDD clip if OOB. offset
/* (d1,vc1,d0,vc0)=(2,0,0,0) */
_v_add_co_u32 v1, vcc, v1, 9                       // coord1.1: coord1Vgpr += d1*sg1*VW + vc1

/* Fix for UseInitialStridesCD, emitAddressSetupCode */
s_mul_i32 s54, s[sgprStrideC1J], 9                 // scale stride
_v_add_u32 v2, v2, s54                             // ROWINC- Move cinRowPtr to next row
s_mul_i32 s54, s[sgprStrideD1J], 9                 // scale stride
_v_add_u32 v3, v3, s54                             // Move coutRowPtr to next row
v_cmp_lt_u32 s[54:55], v0, s[sgprSizeI]            // coord0 < size0
v_cmp_lt_u32 s[58:59], v1, s[sgprSizeJ]            // coord1 < size1
s_and_b64 s[58:59], s[54:55], s[58:59]             // in0 && in1
_v_add_lshl_u32 v85, v3, v0, 0x2                   // scaleToBpe: accumulate d0 lower and *= bpe into Cin addr
v_cndmask_b32 v85, -1, v85, s[58:59]               // LDD clip if OOB. offset
/* (d1,vc1,d0,vc0)=(2,1,0,0) */
_v_add_co_u32 v1, vcc, v1, 1                       // coord1.1: coord1Vgpr += d1*sg1*VW + vc1

/* Fix for UseInitialStridesCD, emitAddressSetupCode */
_v_add_u32 v2, v2, s[sgprStrideC1J]                // ROWINC- Move cinRowPtr to next row
_v_add_u32 v3, v3, s[sgprStrideD1J]                // Move coutRowPtr to next row
v_cmp_lt_u32 s[54:55], v0, s[sgprSizeI]            // coord0 < size0
v_cmp_lt_u32 s[58:59], v1, s[sgprSizeJ]            // coord1 < size1
s_and_b64 s[58:59], s[54:55], s[58:59]             // in0 && in1
_v_add_lshl_u32 v86, v3, v0, 0x2                   // scaleToBpe: accumulate d0 lower and *= bpe into Cin addr
v_cndmask_b32 v86, -1, v86, s[58:59]               // LDD clip if OOB. offset
/* (d1,vc1,d0,vc0)=(2,2,0,0) */
_v_add_co_u32 v1, vcc, v1, 1                       // coord1.1: coord1Vgpr += d1*sg1*VW + vc1

/* Fix for UseInitialStridesCD, emitAddressSetupCode */
_v_add_u32 v2, v2, s[sgprStrideC1J]                // ROWINC- Move cinRowPtr to next row
_v_add_u32 v3, v3, s[sgprStrideD1J]                // Move coutRowPtr to next row
	;; [unrolled: 11-line block ×3, first 2 shown]
v_cmp_lt_u32 s[54:55], v0, s[sgprSizeI]            // coord0 < size0
v_cmp_lt_u32 s[58:59], v1, s[sgprSizeJ]            // coord1 < size1
s_and_b64 s[58:59], s[54:55], s[58:59]             // in0 && in1
_v_add_lshl_u32 v104, v3, v0, 0x2                  // scaleToBpe: accumulate d0 lower and *= bpe into Cin addr
v_cndmask_b32 v104, -1, v104, s[58:59]             // LDD clip if OOB. offset
/* (d1,vc1,d0,vc0)=(2,4,0,0) */
_v_add_co_u32 v1, vcc, v1, 1                       // coord1.1: coord1Vgpr += d1*sg1*VW + vc1

/* Fix for UseInitialStridesCD, emitAddressSetupCode */
_v_add_u32 v2, v2, s[sgprStrideC1J]                // ROWINC- Move cinRowPtr to next row
_v_add_u32 v3, v3, s[sgprStrideD1J]                // Move coutRowPtr to next row
v_cmp_lt_u32 s[54:55], v0, s[sgprSizeI]            // coord0 < size0
v_cmp_lt_u32 s[58:59], v1, s[sgprSizeJ]            // coord1 < size1
s_and_b64 s[58:59], s[54:55], s[58:59]             // in0 && in1
_v_add_lshl_u32 v105, v3, v0, 0x2                  // scaleToBpe: accumulate d0 lower and *= bpe into Cin addr
v_cndmask_b32 v105, -1, v105, s[58:59]             // LDD clip if OOB. offset
/* (d1,vc1,d0,vc0)=(2,5,0,0) */
_v_add_co_u32 v1, vcc, v1, 1                       // coord1.1: coord1Vgpr += d1*sg1*VW + vc1

/* Fix for UseInitialStridesCD, emitAddressSetupCode */
_v_add_u32 v2, v2, s[sgprStrideC1J]                // ROWINC- Move cinRowPtr to next row
_v_add_u32 v3, v3, s[sgprStrideD1J]                // Move coutRowPtr to next row
	;; [unrolled: 11-line block ×4, first 2 shown]
v_cmp_lt_u32 s[54:55], v0, s[sgprSizeI]            // coord0 < size0
v_cmp_lt_u32 s[58:59], v1, s[sgprSizeJ]            // coord1 < size1
s_and_b64 s[58:59], s[54:55], s[58:59]             // in0 && in1
_v_add_lshl_u32 v124, v3, v0, 0x2                  // scaleToBpe: accumulate d0 lower and *= bpe into Cin addr
v_cndmask_b32 v124, -1, v124, s[58:59]             // LDD clip if OOB. offset
/* (d1,vc1,d0,vc0)=(3,0,0,0) */
_v_add_co_u32 v1, vcc, v1, 9                       // coord1.1: coord1Vgpr += d1*sg1*VW + vc1

/* Fix for UseInitialStridesCD, emitAddressSetupCode */
s_mul_i32 s54, s[sgprStrideC1J], 9                 // scale stride
_v_add_u32 v2, v2, s54                             // ROWINC- Move cinRowPtr to next row
s_mul_i32 s54, s[sgprStrideD1J], 9                 // scale stride
_v_add_u32 v3, v3, s54                             // Move coutRowPtr to next row
v_cmp_lt_u32 s[54:55], v0, s[sgprSizeI]            // coord0 < size0
v_cmp_lt_u32 s[58:59], v1, s[sgprSizeJ]            // coord1 < size1
s_and_b64 s[58:59], s[54:55], s[58:59]             // in0 && in1
_v_add_lshl_u32 v125, v3, v0, 0x2                  // scaleToBpe: accumulate d0 lower and *= bpe into Cin addr
v_cndmask_b32 v125, -1, v125, s[58:59]             // LDD clip if OOB. offset
/* (d1,vc1,d0,vc0)=(3,1,0,0) */
_v_add_co_u32 v1, vcc, v1, 1                       // coord1.1: coord1Vgpr += d1*sg1*VW + vc1

/* Fix for UseInitialStridesCD, emitAddressSetupCode */
_v_add_u32 v2, v2, s[sgprStrideC1J]                // ROWINC- Move cinRowPtr to next row
_v_add_u32 v3, v3, s[sgprStrideD1J]                // Move coutRowPtr to next row
v_cmp_lt_u32 s[54:55], v0, s[sgprSizeI]            // coord0 < size0
v_cmp_lt_u32 s[58:59], v1, s[sgprSizeJ]            // coord1 < size1
s_and_b64 s[58:59], s[54:55], s[58:59]             // in0 && in1
_v_add_lshl_u32 v126, v3, v0, 0x2                  // scaleToBpe: accumulate d0 lower and *= bpe into Cin addr
v_cndmask_b32 v126, -1, v126, s[58:59]             // LDD clip if OOB. offset
/* (d1,vc1,d0,vc0)=(3,2,0,0) */
_v_add_co_u32 v1, vcc, v1, 1                       // coord1.1: coord1Vgpr += d1*sg1*VW + vc1

/* Fix for UseInitialStridesCD, emitAddressSetupCode */
_v_add_u32 v2, v2, s[sgprStrideC1J]                // ROWINC- Move cinRowPtr to next row
_v_add_u32 v3, v3, s[sgprStrideD1J]                // Move coutRowPtr to next row
	;; [unrolled: 11-line block ×7, first 2 shown]
v_cmp_lt_u32 s[54:55], v0, s[sgprSizeI]            // coord0 < size0
v_cmp_lt_u32 s[58:59], v1, s[sgprSizeJ]            // coord1 < size1
s_and_b64 s[58:59], s[54:55], s[58:59]             // in0 && in1
_v_add_lshl_u32 v164, v3, v0, 0x2                  // scaleToBpe: accumulate d0 lower and *= bpe into Cin addr
v_cndmask_b32 v164, -1, v164, s[58:59]             // LDD clip if OOB. offset
/* (d1,vc1,d0,vc0)=(4,0,0,0) */
s_mov_b32 s54, 73                                  // rowInc d1=0 vc1=0
_v_add_co_u32 v1, vcc, v1, s54                     // coord1.2: coord1 += d1*sg1*VW + vc1

/* Fix for UseInitialStridesCD, emitAddressSetupCode */
s_mul_i32 s54, s[sgprStrideC1J], 73                // scale stride
_v_add_u32 v2, v2, s54                             // ROWINC- Move cinRowPtr to next row
s_mul_i32 s54, s[sgprStrideD1J], 73                // scale stride
_v_add_u32 v3, v3, s54                             // Move coutRowPtr to next row
v_cmp_lt_u32 s[54:55], v0, s[sgprSizeI]            // coord0 < size0
v_cmp_lt_u32 s[58:59], v1, s[sgprSizeJ]            // coord1 < size1
s_and_b64 s[58:59], s[54:55], s[58:59]             // in0 && in1
_v_add_lshl_u32 v165, v3, v0, 0x2                  // scaleToBpe: accumulate d0 lower and *= bpe into Cin addr
v_cndmask_b32 v165, -1, v165, s[58:59]             // LDD clip if OOB. offset
/* (d1,vc1,d0,vc0)=(4,1,0,0) */
_v_add_co_u32 v1, vcc, v1, 1                       // coord1.1: coord1Vgpr += d1*sg1*VW + vc1

/* Fix for UseInitialStridesCD, emitAddressSetupCode */
_v_add_u32 v2, v2, s[sgprStrideC1J]                // ROWINC- Move cinRowPtr to next row
_v_add_u32 v3, v3, s[sgprStrideD1J]                // Move coutRowPtr to next row
v_cmp_lt_u32 s[54:55], v0, s[sgprSizeI]            // coord0 < size0
v_cmp_lt_u32 s[58:59], v1, s[sgprSizeJ]            // coord1 < size1
s_and_b64 s[58:59], s[54:55], s[58:59]             // in0 && in1
_v_add_lshl_u32 v166, v3, v0, 0x2                  // scaleToBpe: accumulate d0 lower and *= bpe into Cin addr
v_cndmask_b32 v166, -1, v166, s[58:59]             // LDD clip if OOB. offset
/* (d1,vc1,d0,vc0)=(4,2,0,0) */
_v_add_co_u32 v1, vcc, v1, 1                       // coord1.1: coord1Vgpr += d1*sg1*VW + vc1

/* Fix for UseInitialStridesCD, emitAddressSetupCode */
_v_add_u32 v2, v2, s[sgprStrideC1J]                // ROWINC- Move cinRowPtr to next row
_v_add_u32 v3, v3, s[sgprStrideD1J]                // Move coutRowPtr to next row
	;; [unrolled: 11-line block ×7, first 2 shown]
v_cmp_lt_u32 s[54:55], v0, s[sgprSizeI]            // coord0 < size0
v_cmp_lt_u32 s[58:59], v1, s[sgprSizeJ]            // coord1 < size1
s_and_b64 s[58:59], s[54:55], s[58:59]             // in0 && in1
_v_add_lshl_u32 v204, v3, v0, 0x2                  // scaleToBpe: accumulate d0 lower and *= bpe into Cin addr
v_cndmask_b32 v204, -1, v204, s[58:59]             // LDD clip if OOB. offset
/* (d1,vc1,d0,vc0)=(5,0,0,0) */
_v_add_co_u32 v1, vcc, v1, 9                       // coord1.1: coord1Vgpr += d1*sg1*VW + vc1

/* Fix for UseInitialStridesCD, emitAddressSetupCode */
s_mul_i32 s54, s[sgprStrideC1J], 9                 // scale stride
_v_add_u32 v2, v2, s54                             // ROWINC- Move cinRowPtr to next row
s_mul_i32 s54, s[sgprStrideD1J], 9                 // scale stride
_v_add_u32 v3, v3, s54                             // Move coutRowPtr to next row
v_cmp_lt_u32 s[54:55], v0, s[sgprSizeI]            // coord0 < size0
v_cmp_lt_u32 s[58:59], v1, s[sgprSizeJ]            // coord1 < size1
s_and_b64 s[58:59], s[54:55], s[58:59]             // in0 && in1
_v_add_lshl_u32 v205, v3, v0, 0x2                  // scaleToBpe: accumulate d0 lower and *= bpe into Cin addr
v_cndmask_b32 v205, -1, v205, s[58:59]             // LDD clip if OOB. offset
/* (d1,vc1,d0,vc0)=(5,1,0,0) */
_v_add_co_u32 v1, vcc, v1, 1                       // coord1.1: coord1Vgpr += d1*sg1*VW + vc1

/* Fix for UseInitialStridesCD, emitAddressSetupCode */
_v_add_u32 v2, v2, s[sgprStrideC1J]                // ROWINC- Move cinRowPtr to next row
_v_add_u32 v3, v3, s[sgprStrideD1J]                // Move coutRowPtr to next row
v_cmp_lt_u32 s[54:55], v0, s[sgprSizeI]            // coord0 < size0
v_cmp_lt_u32 s[58:59], v1, s[sgprSizeJ]            // coord1 < size1
s_and_b64 s[58:59], s[54:55], s[58:59]             // in0 && in1
_v_add_lshl_u32 v206, v3, v0, 0x2                  // scaleToBpe: accumulate d0 lower and *= bpe into Cin addr
v_cndmask_b32 v206, -1, v206, s[58:59]             // LDD clip if OOB. offset
/* (d1,vc1,d0,vc0)=(5,2,0,0) */
_v_add_co_u32 v1, vcc, v1, 1                       // coord1.1: coord1Vgpr += d1*sg1*VW + vc1

/* Fix for UseInitialStridesCD, emitAddressSetupCode */
_v_add_u32 v2, v2, s[sgprStrideC1J]                // ROWINC- Move cinRowPtr to next row
_v_add_u32 v3, v3, s[sgprStrideD1J]                // Move coutRowPtr to next row
	;; [unrolled: 11-line block ×7, first 2 shown]
v_cmp_lt_u32 s[54:55], v0, s[sgprSizeI]            // coord0 < size0
v_cmp_lt_u32 s[58:59], v1, s[sgprSizeJ]            // coord1 < size1
s_and_b64 s[58:59], s[54:55], s[58:59]             // in0 && in1
_v_add_lshl_u32 v244, v3, v0, 0x2                  // scaleToBpe: accumulate d0 lower and *= bpe into Cin addr
v_cndmask_b32 v244, -1, v244, s[58:59]             // LDD clip if OOB. offset
v_accvgpr_read_b32 v[vgprValuC+8], acc0 // copy acc to vreg[0]
v_accvgpr_read_b32 v[vgprValuC+9], acc16 // copy acc to vreg[1]
v_accvgpr_read_b32 v[vgprValuC+10], acc32 // copy acc to vreg[2]
v_accvgpr_read_b32 v[vgprValuC+11], acc48 // copy acc to vreg[3]
v_accvgpr_read_b32 v[vgprValuC+12], acc64 // copy acc to vreg[4]
v_accvgpr_read_b32 v[vgprValuC+13], acc80 // copy acc to vreg[5]
v_accvgpr_read_b32 v[vgprValuC+14], acc96 // copy acc to vreg[6]
v_accvgpr_read_b32 v[vgprValuC+15], acc112 // copy acc to vreg[7]
v_accvgpr_read_b32 v[vgprValuC+20], acc1 // copy acc to vreg[8]
v_accvgpr_read_b32 v[vgprValuC+21], acc17 // copy acc to vreg[9]
v_accvgpr_read_b32 v[vgprValuC+22], acc33 // copy acc to vreg[10]
v_accvgpr_read_b32 v[vgprValuC+23], acc49 // copy acc to vreg[11]
v_accvgpr_read_b32 v[vgprValuC+24], acc65 // copy acc to vreg[12]
v_accvgpr_read_b32 v[vgprValuC+25], acc81 // copy acc to vreg[13]
v_accvgpr_read_b32 v[vgprValuC+26], acc97 // copy acc to vreg[14]
v_accvgpr_read_b32 v[vgprValuC+27], acc113 // copy acc to vreg[15]
v_accvgpr_read_b32 v[vgprValuC+28], acc2 // copy acc to vreg[16]
v_accvgpr_read_b32 v[vgprValuC+29], acc18 // copy acc to vreg[17]
v_accvgpr_read_b32 v[vgprValuC+30], acc34 // copy acc to vreg[18]
v_accvgpr_read_b32 v[vgprValuC+31], acc50 // copy acc to vreg[19]
v_accvgpr_read_b32 v[vgprValuC+32], acc66 // copy acc to vreg[20]
v_accvgpr_read_b32 v[vgprValuC+33], acc82 // copy acc to vreg[21]
v_accvgpr_read_b32 v[vgprValuC+34], acc98 // copy acc to vreg[22]
v_accvgpr_read_b32 v[vgprValuC+35], acc114 // copy acc to vreg[23]
v_accvgpr_read_b32 v[vgprValuC+40], acc3 // copy acc to vreg[24]
v_accvgpr_read_b32 v[vgprValuC+41], acc19 // copy acc to vreg[25]
v_accvgpr_read_b32 v[vgprValuC+42], acc35 // copy acc to vreg[26]
v_accvgpr_read_b32 v[vgprValuC+43], acc51 // copy acc to vreg[27]
v_accvgpr_read_b32 v[vgprValuC+44], acc67 // copy acc to vreg[28]
v_accvgpr_read_b32 v[vgprValuC+45], acc83 // copy acc to vreg[29]
v_accvgpr_read_b32 v[vgprValuC+46], acc99 // copy acc to vreg[30]
v_accvgpr_read_b32 v[vgprValuC+47], acc115 // copy acc to vreg[31]
v_accvgpr_read_b32 v[vgprValuC+48], acc4 // copy acc to vreg[32]
v_accvgpr_read_b32 v[vgprValuC+49], acc20 // copy acc to vreg[33]
v_accvgpr_read_b32 v[vgprValuC+50], acc36 // copy acc to vreg[34]
v_accvgpr_read_b32 v[vgprValuC+51], acc52 // copy acc to vreg[35]
v_accvgpr_read_b32 v[vgprValuC+60], acc68 // copy acc to vreg[36]
v_accvgpr_read_b32 v[vgprValuC+61], acc84 // copy acc to vreg[37]
v_accvgpr_read_b32 v[vgprValuC+62], acc100 // copy acc to vreg[38]
v_accvgpr_read_b32 v[vgprValuC+63], acc116 // copy acc to vreg[39]
v_accvgpr_read_b32 v[vgprValuC+64], acc5 // copy acc to vreg[40]
v_accvgpr_read_b32 v[vgprValuC+65], acc21 // copy acc to vreg[41]
v_accvgpr_read_b32 v[vgprValuC+66], acc37 // copy acc to vreg[42]
v_accvgpr_read_b32 v[vgprValuC+67], acc53 // copy acc to vreg[43]
v_accvgpr_read_b32 v[vgprValuC+68], acc69 // copy acc to vreg[44]
v_accvgpr_read_b32 v[vgprValuC+69], acc85 // copy acc to vreg[45]
v_accvgpr_read_b32 v[vgprValuC+70], acc101 // copy acc to vreg[46]
v_accvgpr_read_b32 v[vgprValuC+71], acc117 // copy acc to vreg[47]
v_accvgpr_read_b32 v[vgprValuC+72], acc6 // copy acc to vreg[48]
v_accvgpr_read_b32 v[vgprValuC+73], acc22 // copy acc to vreg[49]
v_accvgpr_read_b32 v[vgprValuC+74], acc38 // copy acc to vreg[50]
v_accvgpr_read_b32 v[vgprValuC+75], acc54 // copy acc to vreg[51]
v_accvgpr_read_b32 v[vgprValuC+76], acc70 // copy acc to vreg[52]
v_accvgpr_read_b32 v[vgprValuC+77], acc86 // copy acc to vreg[53]
v_accvgpr_read_b32 v[vgprValuC+78], acc102 // copy acc to vreg[54]
v_accvgpr_read_b32 v[vgprValuC+79], acc118 // copy acc to vreg[55]
v_accvgpr_read_b32 v[vgprValuC+80], acc7 // copy acc to vreg[56]
v_accvgpr_read_b32 v[vgprValuC+81], acc23 // copy acc to vreg[57]
v_accvgpr_read_b32 v[vgprValuC+82], acc39 // copy acc to vreg[58]
v_accvgpr_read_b32 v[vgprValuC+83], acc55 // copy acc to vreg[59]
v_accvgpr_read_b32 v[vgprValuC+88], acc71 // copy acc to vreg[60]
v_accvgpr_read_b32 v[vgprValuC+89], acc87 // copy acc to vreg[61]
v_accvgpr_read_b32 v[vgprValuC+90], acc103 // copy acc to vreg[62]
v_accvgpr_read_b32 v[vgprValuC+91], acc119 // copy acc to vreg[63]
v_accvgpr_read_b32 v[vgprValuC+92], acc8 // copy acc to vreg[64]
v_accvgpr_read_b32 v[vgprValuC+93], acc24 // copy acc to vreg[65]
v_accvgpr_read_b32 v[vgprValuC+94], acc40 // copy acc to vreg[66]
v_accvgpr_read_b32 v[vgprValuC+95], acc56 // copy acc to vreg[67]
v_accvgpr_read_b32 v[vgprValuC+96], acc72 // copy acc to vreg[68]
v_accvgpr_read_b32 v[vgprValuC+97], acc88 // copy acc to vreg[69]
v_accvgpr_read_b32 v[vgprValuC+98], acc104 // copy acc to vreg[70]
v_accvgpr_read_b32 v[vgprValuC+99], acc120 // copy acc to vreg[71]
v_accvgpr_read_b32 v[vgprValuC+100], acc9 // copy acc to vreg[72]
v_accvgpr_read_b32 v[vgprValuC+101], acc25 // copy acc to vreg[73]
v_accvgpr_read_b32 v[vgprValuC+102], acc41 // copy acc to vreg[74]
v_accvgpr_read_b32 v[vgprValuC+103], acc57 // copy acc to vreg[75]
v_accvgpr_read_b32 v[vgprValuC+108], acc73 // copy acc to vreg[76]
v_accvgpr_read_b32 v[vgprValuC+109], acc89 // copy acc to vreg[77]
v_accvgpr_read_b32 v[vgprValuC+110], acc105 // copy acc to vreg[78]
v_accvgpr_read_b32 v[vgprValuC+111], acc121 // copy acc to vreg[79]
v_accvgpr_read_b32 v[vgprValuC+112], acc10 // copy acc to vreg[80]
v_accvgpr_read_b32 v[vgprValuC+113], acc26 // copy acc to vreg[81]
v_accvgpr_read_b32 v[vgprValuC+114], acc42 // copy acc to vreg[82]
v_accvgpr_read_b32 v[vgprValuC+115], acc58 // copy acc to vreg[83]
v_accvgpr_read_b32 v[vgprValuC+116], acc74 // copy acc to vreg[84]
v_accvgpr_read_b32 v[vgprValuC+117], acc90 // copy acc to vreg[85]
v_accvgpr_read_b32 v[vgprValuC+118], acc106 // copy acc to vreg[86]
v_accvgpr_read_b32 v[vgprValuC+119], acc122 // copy acc to vreg[87]
v_accvgpr_read_b32 v[vgprValuC+120], acc11 // copy acc to vreg[88]
v_accvgpr_read_b32 v[vgprValuC+121], acc27 // copy acc to vreg[89]
v_accvgpr_read_b32 v[vgprValuC+122], acc43 // copy acc to vreg[90]
v_accvgpr_read_b32 v[vgprValuC+123], acc59 // copy acc to vreg[91]
v_accvgpr_read_b32 v[vgprValuC+128], acc75 // copy acc to vreg[92]
v_accvgpr_read_b32 v[vgprValuC+129], acc91 // copy acc to vreg[93]
v_accvgpr_read_b32 v[vgprValuC+130], acc107 // copy acc to vreg[94]
v_accvgpr_read_b32 v[vgprValuC+131], acc123 // copy acc to vreg[95]
v_accvgpr_read_b32 v[vgprValuC+132], acc12 // copy acc to vreg[96]
v_accvgpr_read_b32 v[vgprValuC+133], acc28 // copy acc to vreg[97]
v_accvgpr_read_b32 v[vgprValuC+134], acc44 // copy acc to vreg[98]
v_accvgpr_read_b32 v[vgprValuC+135], acc60 // copy acc to vreg[99]
v_accvgpr_read_b32 v[vgprValuC+136], acc76 // copy acc to vreg[100]
v_accvgpr_read_b32 v[vgprValuC+137], acc92 // copy acc to vreg[101]
v_accvgpr_read_b32 v[vgprValuC+138], acc108 // copy acc to vreg[102]
v_accvgpr_read_b32 v[vgprValuC+139], acc124 // copy acc to vreg[103]
v_accvgpr_read_b32 v[vgprValuC+140], acc13 // copy acc to vreg[104]
v_accvgpr_read_b32 v[vgprValuC+141], acc29 // copy acc to vreg[105]
v_accvgpr_read_b32 v[vgprValuC+142], acc45 // copy acc to vreg[106]
v_accvgpr_read_b32 v[vgprValuC+143], acc61 // copy acc to vreg[107]
v_accvgpr_read_b32 v[vgprValuC+148], acc77 // copy acc to vreg[108]
v_accvgpr_read_b32 v[vgprValuC+149], acc93 // copy acc to vreg[109]
v_accvgpr_read_b32 v[vgprValuC+150], acc109 // copy acc to vreg[110]
v_accvgpr_read_b32 v[vgprValuC+151], acc125 // copy acc to vreg[111]
v_accvgpr_read_b32 v[vgprValuC+152], acc14 // copy acc to vreg[112]
v_accvgpr_read_b32 v[vgprValuC+153], acc30 // copy acc to vreg[113]
v_accvgpr_read_b32 v[vgprValuC+154], acc46 // copy acc to vreg[114]
v_accvgpr_read_b32 v[vgprValuC+155], acc62 // copy acc to vreg[115]
v_accvgpr_read_b32 v[vgprValuC+156], acc78 // copy acc to vreg[116]
v_accvgpr_read_b32 v[vgprValuC+157], acc94 // copy acc to vreg[117]
v_accvgpr_read_b32 v[vgprValuC+158], acc110 // copy acc to vreg[118]
v_accvgpr_read_b32 v[vgprValuC+159], acc126 // copy acc to vreg[119]
v_accvgpr_read_b32 v[vgprValuC+160], acc15 // copy acc to vreg[120]
v_accvgpr_read_b32 v[vgprValuC+161], acc31 // copy acc to vreg[121]
v_accvgpr_read_b32 v[vgprValuC+162], acc47 // copy acc to vreg[122]
v_accvgpr_read_b32 v[vgprValuC+163], acc63 // copy acc to vreg[123]
v_accvgpr_read_b32 v[vgprValuC+168], acc79 // copy acc to vreg[124]
v_accvgpr_read_b32 v[vgprValuC+169], acc95 // copy acc to vreg[125]
v_accvgpr_read_b32 v[vgprValuC+170], acc111 // copy acc to vreg[126]
v_accvgpr_read_b32 v[vgprValuC+171], acc127 // copy acc to vreg[127]
v_accvgpr_read_b32 v[vgprValuC+172], acc128 // copy acc to vreg[128]
v_accvgpr_read_b32 v[vgprValuC+173], acc144 // copy acc to vreg[129]
v_accvgpr_read_b32 v[vgprValuC+174], acc160 // copy acc to vreg[130]
v_accvgpr_read_b32 v[vgprValuC+175], acc176 // copy acc to vreg[131]
v_accvgpr_read_b32 v[vgprValuC+176], acc192 // copy acc to vreg[132]
v_accvgpr_read_b32 v[vgprValuC+177], acc208 // copy acc to vreg[133]
v_accvgpr_read_b32 v[vgprValuC+178], acc224 // copy acc to vreg[134]
v_accvgpr_read_b32 v[vgprValuC+179], acc240 // copy acc to vreg[135]
v_accvgpr_read_b32 v[vgprValuC+180], acc129 // copy acc to vreg[136]
v_accvgpr_read_b32 v[vgprValuC+181], acc145 // copy acc to vreg[137]
v_accvgpr_read_b32 v[vgprValuC+182], acc161 // copy acc to vreg[138]
v_accvgpr_read_b32 v[vgprValuC+183], acc177 // copy acc to vreg[139]
v_accvgpr_read_b32 v[vgprValuC+188], acc193 // copy acc to vreg[140]
v_accvgpr_read_b32 v[vgprValuC+189], acc209 // copy acc to vreg[141]
v_accvgpr_read_b32 v[vgprValuC+190], acc225 // copy acc to vreg[142]
v_accvgpr_read_b32 v[vgprValuC+191], acc241 // copy acc to vreg[143]
v_accvgpr_read_b32 v[vgprValuC+192], acc130 // copy acc to vreg[144]
v_accvgpr_read_b32 v[vgprValuC+193], acc146 // copy acc to vreg[145]
v_accvgpr_read_b32 v[vgprValuC+194], acc162 // copy acc to vreg[146]
v_accvgpr_read_b32 v[vgprValuC+195], acc178 // copy acc to vreg[147]
v_accvgpr_read_b32 v[vgprValuC+196], acc194 // copy acc to vreg[148]
v_accvgpr_read_b32 v[vgprValuC+197], acc210 // copy acc to vreg[149]
v_accvgpr_read_b32 v[vgprValuC+198], acc226 // copy acc to vreg[150]
v_accvgpr_read_b32 v[vgprValuC+199], acc242 // copy acc to vreg[151]
v_accvgpr_read_b32 v[vgprValuC+200], acc131 // copy acc to vreg[152]
v_accvgpr_read_b32 v[vgprValuC+201], acc147 // copy acc to vreg[153]
v_accvgpr_read_b32 v[vgprValuC+202], acc163 // copy acc to vreg[154]
v_accvgpr_read_b32 v[vgprValuC+203], acc179 // copy acc to vreg[155]
v_accvgpr_read_b32 v[vgprValuC+208], acc195 // copy acc to vreg[156]
v_accvgpr_read_b32 v[vgprValuC+209], acc211 // copy acc to vreg[157]
v_accvgpr_read_b32 v[vgprValuC+210], acc227 // copy acc to vreg[158]
v_accvgpr_read_b32 v[vgprValuC+211], acc243 // copy acc to vreg[159]
v_accvgpr_read_b32 v[vgprValuC+212], acc132 // copy acc to vreg[160]
v_accvgpr_read_b32 v[vgprValuC+213], acc148 // copy acc to vreg[161]
v_accvgpr_read_b32 v[vgprValuC+214], acc164 // copy acc to vreg[162]
v_accvgpr_read_b32 v[vgprValuC+215], acc180 // copy acc to vreg[163]
v_accvgpr_read_b32 v[vgprValuC+216], acc196 // copy acc to vreg[164]
v_accvgpr_read_b32 v[vgprValuC+217], acc212 // copy acc to vreg[165]
v_accvgpr_read_b32 v[vgprValuC+218], acc228 // copy acc to vreg[166]
v_accvgpr_read_b32 v[vgprValuC+219], acc244 // copy acc to vreg[167]
v_accvgpr_read_b32 v[vgprValuC+220], acc133 // copy acc to vreg[168]
v_accvgpr_read_b32 v[vgprValuC+221], acc149 // copy acc to vreg[169]
v_accvgpr_read_b32 v[vgprValuC+222], acc165 // copy acc to vreg[170]
v_accvgpr_read_b32 v[vgprValuC+223], acc181 // copy acc to vreg[171]
v_accvgpr_read_b32 v[vgprValuC+228], acc197 // copy acc to vreg[172]
v_accvgpr_read_b32 v[vgprValuC+229], acc213 // copy acc to vreg[173]
v_accvgpr_read_b32 v[vgprValuC+230], acc229 // copy acc to vreg[174]
v_accvgpr_read_b32 v[vgprValuC+231], acc245 // copy acc to vreg[175]
v_accvgpr_read_b32 v[vgprValuC+232], acc134 // copy acc to vreg[176]
v_accvgpr_read_b32 v[vgprValuC+233], acc150 // copy acc to vreg[177]
v_accvgpr_read_b32 v[vgprValuC+234], acc166 // copy acc to vreg[178]
v_accvgpr_read_b32 v[vgprValuC+235], acc182 // copy acc to vreg[179]
v_accvgpr_read_b32 v[vgprValuC+236], acc198 // copy acc to vreg[180]
v_accvgpr_read_b32 v[vgprValuC+237], acc214 // copy acc to vreg[181]
v_accvgpr_read_b32 v[vgprValuC+238], acc230 // copy acc to vreg[182]
v_accvgpr_read_b32 v[vgprValuC+239], acc246 // copy acc to vreg[183]
v_accvgpr_read_b32 v[vgprValuC+240], acc135 // copy acc to vreg[184]
v_accvgpr_read_b32 v[vgprValuC+241], acc151 // copy acc to vreg[185]
v_accvgpr_read_b32 v[vgprValuC+242], acc167 // copy acc to vreg[186]
v_accvgpr_read_b32 v[vgprValuC+243], acc183 // copy acc to vreg[187]
v_accvgpr_read_b32 v[vgprValuC+248], acc199 // copy acc to vreg[188]
v_accvgpr_read_b32 v[vgprValuC+249], acc215 // copy acc to vreg[189]
v_accvgpr_read_b32 v[vgprValuC+250], acc231 // copy acc to vreg[190]
v_accvgpr_read_b32 v[vgprValuC+251], acc247 // copy acc to vreg[191]
s_nop 1                                            // 2 wait states required before reading vgpr

/* rC *= alpha batchElements=[(0, 0, 0, 0), (0, 0, 1, 0), (0, 0, 2, 0), (0, 0, 3, 0), (0, 0, 4, 0), (0, 0, 5, 0), (0, 0, 6, 0), (0, 0, 7, 0), (1, 0, 0, 0), (1, 0, 1, 0), (1, 0, 2, 0), (1, 0, 3, 0), (1, 0, 4, 0), (1, 0, 5, 0), (1, 0, 6, 0), (1, 0, 7, 0), (2, 0, 0, 0), (2, 0, 1, 0), (2, 0, 2, 0), (2, 0, 3, 0), (2, 0, 4, 0), (2, 0, 5, 0), (2, 0, 6, 0), (2, 0, 7, 0), (3, 0, 0, 0), (3, 0, 1, 0), (3, 0, 2, 0), (3, 0, 3, 0), (3, 0, 4, 0), (3, 0, 5, 0), (3, 0, 6, 0), (3, 0, 7, 0), (4, 0, 0, 0), (4, 0, 1, 0), (4, 0, 2, 0), (4, 0, 3, 0), (4, 0, 4, 0), (4, 0, 5, 0), (4, 0, 6, 0), (4, 0, 7, 0), (5, 0, 0, 0), (5, 0, 1, 0), (5, 0, 2, 0), (5, 0, 3, 0), (5, 0, 4, 0), (5, 0, 5, 0), (5, 0, 6, 0), (5, 0, 7, 0)] */
v_mul_f32 v[vgprValuC+8], s[sgprAlpha], v[vgprValuC+8] // *= alpha
v_mul_f32 v[vgprValuC+9], s[sgprAlpha], v[vgprValuC+9] // *= alpha
	;; [unrolled: 1-line block ×192, first 2 shown]

/* apply mask, calc new C and issue writes */
_buffer_store_b128 v[8:11], v6, s[sgprSrdD:sgprSrdD+3], 0, offen, offset:0 // store D
_buffer_store_b128 v[12:15], v7, s[sgprSrdD:sgprSrdD+3], 0, offen, offset:0 // store D
_buffer_store_b128 v[20:23], v16, s[sgprSrdD:sgprSrdD+3], 0, offen, offset:0 // store D
_buffer_store_b128 v[24:27], v17, s[sgprSrdD:sgprSrdD+3], 0, offen, offset:0 // store D
_buffer_store_b128 v[28:31], v18, s[sgprSrdD:sgprSrdD+3], 0, offen, offset:0 // store D
_buffer_store_b128 v[32:35], v19, s[sgprSrdD:sgprSrdD+3], 0, offen, offset:0 // store D
_buffer_store_b128 v[40:43], v36, s[sgprSrdD:sgprSrdD+3], 0, offen, offset:0 // store D
_buffer_store_b128 v[44:47], v37, s[sgprSrdD:sgprSrdD+3], 0, offen, offset:0 // store D
_buffer_store_b128 v[48:51], v38, s[sgprSrdD:sgprSrdD+3], 0, offen, offset:0 // store D
_buffer_store_b128 v[60:63], v39, s[sgprSrdD:sgprSrdD+3], 0, offen, offset:0 // store D
_buffer_store_b128 v[64:67], v52, s[sgprSrdD:sgprSrdD+3], 0, offen, offset:0 // store D
_buffer_store_b128 v[68:71], v53, s[sgprSrdD:sgprSrdD+3], 0, offen, offset:0 // store D
_buffer_store_b128 v[72:75], v57, s[sgprSrdD:sgprSrdD+3], 0, offen, offset:0 // store D
_buffer_store_b128 v[76:79], v58, s[sgprSrdD:sgprSrdD+3], 0, offen, offset:0 // store D
_buffer_store_b128 v[80:83], v59, s[sgprSrdD:sgprSrdD+3], 0, offen, offset:0 // store D
_buffer_store_b128 v[88:91], v84, s[sgprSrdD:sgprSrdD+3], 0, offen, offset:0 // store D
_buffer_store_b128 v[92:95], v85, s[sgprSrdD:sgprSrdD+3], 0, offen, offset:0 // store D
_buffer_store_b128 v[96:99], v86, s[sgprSrdD:sgprSrdD+3], 0, offen, offset:0 // store D
_buffer_store_b128 v[100:103], v87, s[sgprSrdD:sgprSrdD+3], 0, offen, offset:0 // store D
_buffer_store_b128 v[108:111], v104, s[sgprSrdD:sgprSrdD+3], 0, offen, offset:0 // store D
_buffer_store_b128 v[112:115], v105, s[sgprSrdD:sgprSrdD+3], 0, offen, offset:0 // store D
_buffer_store_b128 v[116:119], v106, s[sgprSrdD:sgprSrdD+3], 0, offen, offset:0 // store D
_buffer_store_b128 v[120:123], v107, s[sgprSrdD:sgprSrdD+3], 0, offen, offset:0 // store D
_buffer_store_b128 v[128:131], v124, s[sgprSrdD:sgprSrdD+3], 0, offen, offset:0 // store D
_buffer_store_b128 v[132:135], v125, s[sgprSrdD:sgprSrdD+3], 0, offen, offset:0 // store D
_buffer_store_b128 v[136:139], v126, s[sgprSrdD:sgprSrdD+3], 0, offen, offset:0 // store D
_buffer_store_b128 v[140:143], v127, s[sgprSrdD:sgprSrdD+3], 0, offen, offset:0 // store D
_buffer_store_b128 v[148:151], v144, s[sgprSrdD:sgprSrdD+3], 0, offen, offset:0 // store D
_buffer_store_b128 v[152:155], v145, s[sgprSrdD:sgprSrdD+3], 0, offen, offset:0 // store D
_buffer_store_b128 v[156:159], v146, s[sgprSrdD:sgprSrdD+3], 0, offen, offset:0 // store D
_buffer_store_b128 v[160:163], v147, s[sgprSrdD:sgprSrdD+3], 0, offen, offset:0 // store D
_buffer_store_b128 v[168:171], v164, s[sgprSrdD:sgprSrdD+3], 0, offen, offset:0 // store D
_buffer_store_b128 v[172:175], v165, s[sgprSrdD:sgprSrdD+3], 0, offen, offset:0 // store D
_buffer_store_b128 v[176:179], v166, s[sgprSrdD:sgprSrdD+3], 0, offen, offset:0 // store D
_buffer_store_b128 v[180:183], v167, s[sgprSrdD:sgprSrdD+3], 0, offen, offset:0 // store D
_buffer_store_b128 v[188:191], v184, s[sgprSrdD:sgprSrdD+3], 0, offen, offset:0 // store D
_buffer_store_b128 v[192:195], v185, s[sgprSrdD:sgprSrdD+3], 0, offen, offset:0 // store D
_buffer_store_b128 v[196:199], v186, s[sgprSrdD:sgprSrdD+3], 0, offen, offset:0 // store D
_buffer_store_b128 v[200:203], v187, s[sgprSrdD:sgprSrdD+3], 0, offen, offset:0 // store D
_buffer_store_b128 v[208:211], v204, s[sgprSrdD:sgprSrdD+3], 0, offen, offset:0 // store D
_buffer_store_b128 v[212:215], v205, s[sgprSrdD:sgprSrdD+3], 0, offen, offset:0 // store D
_buffer_store_b128 v[216:219], v206, s[sgprSrdD:sgprSrdD+3], 0, offen, offset:0 // store D
_buffer_store_b128 v[220:223], v207, s[sgprSrdD:sgprSrdD+3], 0, offen, offset:0 // store D
_buffer_store_b128 v[228:231], v224, s[sgprSrdD:sgprSrdD+3], 0, offen, offset:0 // store D
_buffer_store_b128 v[232:235], v225, s[sgprSrdD:sgprSrdD+3], 0, offen, offset:0 // store D
_buffer_store_b128 v[236:239], v226, s[sgprSrdD:sgprSrdD+3], 0, offen, offset:0 // store D
_buffer_store_b128 v[240:243], v227, s[sgprSrdD:sgprSrdD+3], 0, offen, offset:0 // store D
_buffer_store_b128 v[248:251], v244, s[sgprSrdD:sgprSrdD+3], 0, offen, offset:0 // store D
s_nop 0                                            // 1 wait state required when next inst writes vgprs held by previous dwordx4 store inst
/* optSingleColVgpr=0 optSharedColVgpr=0 optSGPRUsage=BufferLoad_Edge_Mask optSrdIncForRow=0 */

/******************************************/
/* Global Write Alpha Edge Batch #1 (d1,d0,vc1,vc0) = */
/*    (6,0,0,0:vw4); (6,0,1,0:vw4); (6,0,2,0:vw4); (6,0,3,0:vw4); (6,0,4,0:vw4); (6,0,5,0:vw4); (6,0,6,0:vw4); (6,0,7,0:vw4); (7,0,0,0:vw4); (7,0,1,0:vw4); (7,0,2,0:vw4); (7,0,3,0:vw4); (7,0,4,0:vw4); (7,0,5,0:vw4); (7,0,6,0:vw4); (7,0,7,0:vw4) */
/******************************************/

/* calc coords, apply mask, and issue loads (if necessary) */
/* (d1,vc1,d0,vc0)=(6,0,0,0) */
_v_add_co_u32 v1, vcc, v1, 9                       // coord1.1: coord1Vgpr += d1*sg1*VW + vc1

/* Fix for UseInitialStridesCD, emitAddressSetupCode */
s_mul_i32 s54, s[sgprStrideC1J], 9                 // scale stride
_v_add_u32 v2, v2, s54                             // ROWINC- Move cinRowPtr to next row
s_mul_i32 s54, s[sgprStrideD1J], 9                 // scale stride
_v_add_u32 v3, v3, s54                             // Move coutRowPtr to next row
v_cmp_lt_u32 s[54:55], v0, s[sgprSizeI]            // coord0 < size0
v_cmp_lt_u32 s[58:59], v1, s[sgprSizeJ]            // coord1 < size1
s_and_b64 s[58:59], s[54:55], s[58:59]             // in0 && in1
_v_add_lshl_u32 v6, v3, v0, 0x2                    // scaleToBpe: accumulate d0 lower and *= bpe into Cin addr
v_cndmask_b32 v6, -1, v6, s[58:59]                 // LDD clip if OOB. offset
/* (d1,vc1,d0,vc0)=(6,1,0,0) */
_v_add_co_u32 v1, vcc, v1, 1                       // coord1.1: coord1Vgpr += d1*sg1*VW + vc1

/* Fix for UseInitialStridesCD, emitAddressSetupCode */
_v_add_u32 v2, v2, s[sgprStrideC1J]                // ROWINC- Move cinRowPtr to next row
_v_add_u32 v3, v3, s[sgprStrideD1J]                // Move coutRowPtr to next row
v_cmp_lt_u32 s[54:55], v0, s[sgprSizeI]            // coord0 < size0
v_cmp_lt_u32 s[58:59], v1, s[sgprSizeJ]            // coord1 < size1
s_and_b64 s[58:59], s[54:55], s[58:59]             // in0 && in1
_v_add_lshl_u32 v7, v3, v0, 0x2                    // scaleToBpe: accumulate d0 lower and *= bpe into Cin addr
v_cndmask_b32 v7, -1, v7, s[58:59]                 // LDD clip if OOB. offset
/* (d1,vc1,d0,vc0)=(6,2,0,0) */
_v_add_co_u32 v1, vcc, v1, 1                       // coord1.1: coord1Vgpr += d1*sg1*VW + vc1

/* Fix for UseInitialStridesCD, emitAddressSetupCode */
_v_add_u32 v2, v2, s[sgprStrideC1J]                // ROWINC- Move cinRowPtr to next row
_v_add_u32 v3, v3, s[sgprStrideD1J]                // Move coutRowPtr to next row
v_cmp_lt_u32 s[54:55], v0, s[sgprSizeI]            // coord0 < size0
v_cmp_lt_u32 s[58:59], v1, s[sgprSizeJ]            // coord1 < size1
s_and_b64 s[58:59], s[54:55], s[58:59]             // in0 && in1
_v_add_lshl_u32 v16, v3, v0, 0x2                   // scaleToBpe: accumulate d0 lower and *= bpe into Cin addr
v_cndmask_b32 v16, -1, v16, s[58:59]               // LDD clip if OOB. offset
/* (d1,vc1,d0,vc0)=(6,3,0,0) */
_v_add_co_u32 v1, vcc, v1, 1                       // coord1.1: coord1Vgpr += d1*sg1*VW + vc1

/* Fix for UseInitialStridesCD, emitAddressSetupCode */
_v_add_u32 v2, v2, s[sgprStrideC1J]                // ROWINC- Move cinRowPtr to next row
_v_add_u32 v3, v3, s[sgprStrideD1J]                // Move coutRowPtr to next row
v_cmp_lt_u32 s[54:55], v0, s[sgprSizeI]            // coord0 < size0
v_cmp_lt_u32 s[58:59], v1, s[sgprSizeJ]            // coord1 < size1
s_and_b64 s[58:59], s[54:55], s[58:59]             // in0 && in1
_v_add_lshl_u32 v17, v3, v0, 0x2                   // scaleToBpe: accumulate d0 lower and *= bpe into Cin addr
v_cndmask_b32 v17, -1, v17, s[58:59]               // LDD clip if OOB. offset
/* (d1,vc1,d0,vc0)=(6,4,0,0) */
_v_add_co_u32 v1, vcc, v1, 1                       // coord1.1: coord1Vgpr += d1*sg1*VW + vc1

/* Fix for UseInitialStridesCD, emitAddressSetupCode */
_v_add_u32 v2, v2, s[sgprStrideC1J]                // ROWINC- Move cinRowPtr to next row
_v_add_u32 v3, v3, s[sgprStrideD1J]                // Move coutRowPtr to next row
v_cmp_lt_u32 s[54:55], v0, s[sgprSizeI]            // coord0 < size0
v_cmp_lt_u32 s[58:59], v1, s[sgprSizeJ]            // coord1 < size1
s_and_b64 s[58:59], s[54:55], s[58:59]             // in0 && in1
_v_add_lshl_u32 v18, v3, v0, 0x2                   // scaleToBpe: accumulate d0 lower and *= bpe into Cin addr
v_cndmask_b32 v18, -1, v18, s[58:59]               // LDD clip if OOB. offset
/* (d1,vc1,d0,vc0)=(6,5,0,0) */
_v_add_co_u32 v1, vcc, v1, 1                       // coord1.1: coord1Vgpr += d1*sg1*VW + vc1

/* Fix for UseInitialStridesCD, emitAddressSetupCode */
_v_add_u32 v2, v2, s[sgprStrideC1J]                // ROWINC- Move cinRowPtr to next row
_v_add_u32 v3, v3, s[sgprStrideD1J]                // Move coutRowPtr to next row
v_cmp_lt_u32 s[54:55], v0, s[sgprSizeI]            // coord0 < size0
v_cmp_lt_u32 s[58:59], v1, s[sgprSizeJ]            // coord1 < size1
s_and_b64 s[58:59], s[54:55], s[58:59]             // in0 && in1
_v_add_lshl_u32 v19, v3, v0, 0x2                   // scaleToBpe: accumulate d0 lower and *= bpe into Cin addr
v_cndmask_b32 v19, -1, v19, s[58:59]               // LDD clip if OOB. offset
/* (d1,vc1,d0,vc0)=(6,6,0,0) */
_v_add_co_u32 v1, vcc, v1, 1                       // coord1.1: coord1Vgpr += d1*sg1*VW + vc1

/* Fix for UseInitialStridesCD, emitAddressSetupCode */
_v_add_u32 v2, v2, s[sgprStrideC1J]                // ROWINC- Move cinRowPtr to next row
_v_add_u32 v3, v3, s[sgprStrideD1J]                // Move coutRowPtr to next row
v_cmp_lt_u32 s[54:55], v0, s[sgprSizeI]            // coord0 < size0
v_cmp_lt_u32 s[58:59], v1, s[sgprSizeJ]            // coord1 < size1
s_and_b64 s[58:59], s[54:55], s[58:59]             // in0 && in1
_v_add_lshl_u32 v36, v3, v0, 0x2                   // scaleToBpe: accumulate d0 lower and *= bpe into Cin addr
v_cndmask_b32 v36, -1, v36, s[58:59]               // LDD clip if OOB. offset
/* (d1,vc1,d0,vc0)=(6,7,0,0) */
_v_add_co_u32 v1, vcc, v1, 1                       // coord1.1: coord1Vgpr += d1*sg1*VW + vc1

/* Fix for UseInitialStridesCD, emitAddressSetupCode */
_v_add_u32 v2, v2, s[sgprStrideC1J]                // ROWINC- Move cinRowPtr to next row
_v_add_u32 v3, v3, s[sgprStrideD1J]                // Move coutRowPtr to next row
v_cmp_lt_u32 s[54:55], v0, s[sgprSizeI]            // coord0 < size0
v_cmp_lt_u32 s[58:59], v1, s[sgprSizeJ]            // coord1 < size1
s_and_b64 s[58:59], s[54:55], s[58:59]             // in0 && in1
_v_add_lshl_u32 v37, v3, v0, 0x2                   // scaleToBpe: accumulate d0 lower and *= bpe into Cin addr
v_cndmask_b32 v37, -1, v37, s[58:59]               // LDD clip if OOB. offset
/* (d1,vc1,d0,vc0)=(7,0,0,0) */
_v_add_co_u32 v1, vcc, v1, 9                       // coord1.1: coord1Vgpr += d1*sg1*VW + vc1

/* Fix for UseInitialStridesCD, emitAddressSetupCode */
s_mul_i32 s54, s[sgprStrideC1J], 9                 // scale stride
_v_add_u32 v2, v2, s54                             // ROWINC- Move cinRowPtr to next row
s_mul_i32 s54, s[sgprStrideD1J], 9                 // scale stride
_v_add_u32 v3, v3, s54                             // Move coutRowPtr to next row
v_cmp_lt_u32 s[54:55], v0, s[sgprSizeI]            // coord0 < size0
v_cmp_lt_u32 s[58:59], v1, s[sgprSizeJ]            // coord1 < size1
s_and_b64 s[58:59], s[54:55], s[58:59]             // in0 && in1
_v_add_lshl_u32 v38, v3, v0, 0x2                   // scaleToBpe: accumulate d0 lower and *= bpe into Cin addr
v_cndmask_b32 v38, -1, v38, s[58:59]               // LDD clip if OOB. offset
/* (d1,vc1,d0,vc0)=(7,1,0,0) */
_v_add_co_u32 v1, vcc, v1, 1                       // coord1.1: coord1Vgpr += d1*sg1*VW + vc1

/* Fix for UseInitialStridesCD, emitAddressSetupCode */
_v_add_u32 v2, v2, s[sgprStrideC1J]                // ROWINC- Move cinRowPtr to next row
_v_add_u32 v3, v3, s[sgprStrideD1J]                // Move coutRowPtr to next row
v_cmp_lt_u32 s[54:55], v0, s[sgprSizeI]            // coord0 < size0
v_cmp_lt_u32 s[58:59], v1, s[sgprSizeJ]            // coord1 < size1
s_and_b64 s[58:59], s[54:55], s[58:59]             // in0 && in1
_v_add_lshl_u32 v39, v3, v0, 0x2                   // scaleToBpe: accumulate d0 lower and *= bpe into Cin addr
v_cndmask_b32 v39, -1, v39, s[58:59]               // LDD clip if OOB. offset
/* (d1,vc1,d0,vc0)=(7,2,0,0) */
_v_add_co_u32 v1, vcc, v1, 1                       // coord1.1: coord1Vgpr += d1*sg1*VW + vc1

/* Fix for UseInitialStridesCD, emitAddressSetupCode */
_v_add_u32 v2, v2, s[sgprStrideC1J]                // ROWINC- Move cinRowPtr to next row
_v_add_u32 v3, v3, s[sgprStrideD1J]                // Move coutRowPtr to next row
	;; [unrolled: 11-line block ×7, first 2 shown]
v_cmp_lt_u32 s[54:55], v0, s[sgprSizeI]            // coord0 < size0
v_cmp_lt_u32 s[58:59], v1, s[sgprSizeJ]            // coord1 < size1
s_and_b64 s[58:59], s[54:55], s[58:59]             // in0 && in1
_v_add_lshl_u32 v84, v3, v0, 0x2                   // scaleToBpe: accumulate d0 lower and *= bpe into Cin addr
v_cndmask_b32 v84, -1, v84, s[58:59]               // LDD clip if OOB. offset
v_accvgpr_read_b32 v[vgprValuC+8], acc136 // copy acc to vreg[192]
v_accvgpr_read_b32 v[vgprValuC+9], acc152 // copy acc to vreg[193]
v_accvgpr_read_b32 v[vgprValuC+10], acc168 // copy acc to vreg[194]
v_accvgpr_read_b32 v[vgprValuC+11], acc184 // copy acc to vreg[195]
v_accvgpr_read_b32 v[vgprValuC+12], acc200 // copy acc to vreg[196]
v_accvgpr_read_b32 v[vgprValuC+13], acc216 // copy acc to vreg[197]
v_accvgpr_read_b32 v[vgprValuC+14], acc232 // copy acc to vreg[198]
v_accvgpr_read_b32 v[vgprValuC+15], acc248 // copy acc to vreg[199]
v_accvgpr_read_b32 v[vgprValuC+20], acc137 // copy acc to vreg[200]
v_accvgpr_read_b32 v[vgprValuC+21], acc153 // copy acc to vreg[201]
v_accvgpr_read_b32 v[vgprValuC+22], acc169 // copy acc to vreg[202]
v_accvgpr_read_b32 v[vgprValuC+23], acc185 // copy acc to vreg[203]
v_accvgpr_read_b32 v[vgprValuC+24], acc201 // copy acc to vreg[204]
v_accvgpr_read_b32 v[vgprValuC+25], acc217 // copy acc to vreg[205]
v_accvgpr_read_b32 v[vgprValuC+26], acc233 // copy acc to vreg[206]
v_accvgpr_read_b32 v[vgprValuC+27], acc249 // copy acc to vreg[207]
v_accvgpr_read_b32 v[vgprValuC+28], acc138 // copy acc to vreg[208]
v_accvgpr_read_b32 v[vgprValuC+29], acc154 // copy acc to vreg[209]
v_accvgpr_read_b32 v[vgprValuC+30], acc170 // copy acc to vreg[210]
v_accvgpr_read_b32 v[vgprValuC+31], acc186 // copy acc to vreg[211]
v_accvgpr_read_b32 v[vgprValuC+32], acc202 // copy acc to vreg[212]
v_accvgpr_read_b32 v[vgprValuC+33], acc218 // copy acc to vreg[213]
v_accvgpr_read_b32 v[vgprValuC+34], acc234 // copy acc to vreg[214]
v_accvgpr_read_b32 v[vgprValuC+35], acc250 // copy acc to vreg[215]
v_accvgpr_read_b32 v[vgprValuC+40], acc139 // copy acc to vreg[216]
v_accvgpr_read_b32 v[vgprValuC+41], acc155 // copy acc to vreg[217]
v_accvgpr_read_b32 v[vgprValuC+42], acc171 // copy acc to vreg[218]
v_accvgpr_read_b32 v[vgprValuC+43], acc187 // copy acc to vreg[219]
v_accvgpr_read_b32 v[vgprValuC+44], acc203 // copy acc to vreg[220]
v_accvgpr_read_b32 v[vgprValuC+45], acc219 // copy acc to vreg[221]
v_accvgpr_read_b32 v[vgprValuC+46], acc235 // copy acc to vreg[222]
v_accvgpr_read_b32 v[vgprValuC+47], acc251 // copy acc to vreg[223]
v_accvgpr_read_b32 v[vgprValuC+48], acc140 // copy acc to vreg[224]
v_accvgpr_read_b32 v[vgprValuC+49], acc156 // copy acc to vreg[225]
v_accvgpr_read_b32 v[vgprValuC+50], acc172 // copy acc to vreg[226]
v_accvgpr_read_b32 v[vgprValuC+51], acc188 // copy acc to vreg[227]
v_accvgpr_read_b32 v[vgprValuC+60], acc204 // copy acc to vreg[228]
v_accvgpr_read_b32 v[vgprValuC+61], acc220 // copy acc to vreg[229]
v_accvgpr_read_b32 v[vgprValuC+62], acc236 // copy acc to vreg[230]
v_accvgpr_read_b32 v[vgprValuC+63], acc252 // copy acc to vreg[231]
v_accvgpr_read_b32 v[vgprValuC+64], acc141 // copy acc to vreg[232]
v_accvgpr_read_b32 v[vgprValuC+65], acc157 // copy acc to vreg[233]
v_accvgpr_read_b32 v[vgprValuC+66], acc173 // copy acc to vreg[234]
v_accvgpr_read_b32 v[vgprValuC+67], acc189 // copy acc to vreg[235]
v_accvgpr_read_b32 v[vgprValuC+68], acc205 // copy acc to vreg[236]
v_accvgpr_read_b32 v[vgprValuC+69], acc221 // copy acc to vreg[237]
v_accvgpr_read_b32 v[vgprValuC+70], acc237 // copy acc to vreg[238]
v_accvgpr_read_b32 v[vgprValuC+71], acc253 // copy acc to vreg[239]
v_accvgpr_read_b32 v[vgprValuC+72], acc142 // copy acc to vreg[240]
v_accvgpr_read_b32 v[vgprValuC+73], acc158 // copy acc to vreg[241]
v_accvgpr_read_b32 v[vgprValuC+74], acc174 // copy acc to vreg[242]
v_accvgpr_read_b32 v[vgprValuC+75], acc190 // copy acc to vreg[243]
v_accvgpr_read_b32 v[vgprValuC+76], acc206 // copy acc to vreg[244]
v_accvgpr_read_b32 v[vgprValuC+77], acc222 // copy acc to vreg[245]
v_accvgpr_read_b32 v[vgprValuC+78], acc238 // copy acc to vreg[246]
v_accvgpr_read_b32 v[vgprValuC+79], acc254 // copy acc to vreg[247]
v_accvgpr_read_b32 v[vgprValuC+80], acc143 // copy acc to vreg[248]
v_accvgpr_read_b32 v[vgprValuC+81], acc159 // copy acc to vreg[249]
v_accvgpr_read_b32 v[vgprValuC+82], acc175 // copy acc to vreg[250]
v_accvgpr_read_b32 v[vgprValuC+83], acc191 // copy acc to vreg[251]
v_accvgpr_read_b32 v[vgprValuC+88], acc207 // copy acc to vreg[252]
v_accvgpr_read_b32 v[vgprValuC+89], acc223 // copy acc to vreg[253]
v_accvgpr_read_b32 v[vgprValuC+90], acc239 // copy acc to vreg[254]
v_accvgpr_read_b32 v[vgprValuC+91], acc255 // copy acc to vreg[255]
s_nop 1                                            // 2 wait states required before reading vgpr

/* rC *= alpha batchElements=[(6, 0, 0, 0), (6, 0, 1, 0), (6, 0, 2, 0), (6, 0, 3, 0), (6, 0, 4, 0), (6, 0, 5, 0), (6, 0, 6, 0), (6, 0, 7, 0), (7, 0, 0, 0), (7, 0, 1, 0), (7, 0, 2, 0), (7, 0, 3, 0), (7, 0, 4, 0), (7, 0, 5, 0), (7, 0, 6, 0), (7, 0, 7, 0)] */
v_mul_f32 v[vgprValuC+8], s[sgprAlpha], v[vgprValuC+8] // *= alpha
v_mul_f32 v[vgprValuC+9], s[sgprAlpha], v[vgprValuC+9] // *= alpha
	;; [unrolled: 1-line block ×64, first 2 shown]

/* apply mask, calc new C and issue writes */
_buffer_store_b128 v[8:11], v6, s[sgprSrdD:sgprSrdD+3], 0, offen, offset:0 // store D
_buffer_store_b128 v[12:15], v7, s[sgprSrdD:sgprSrdD+3], 0, offen, offset:0 // store D
	;; [unrolled: 1-line block ×16, first 2 shown]
s_nop 0                                            // 1 wait state required when next inst writes vgprs held by previous dwordx4 store inst
s_branch label_GW_End_178                          // jump to end
GW_Beta_179:
s_and_b32 s54, 255, s[sgprSizeI]                   // s54 = s[sgprSizeI] % 256
s_add_u32 s55, -0x1, s[sgprNumWorkGroups0]         // 
s_cmp_ge_u32 s[sgprWorkGroup0], s55                // wg0 >= nwg0-1 ?
s_cselect_b32 s54, s54, 0                          // set rMT0
s_cmpk_gt_u32 s54, 0x0                             // rMT0 > 0
s_cbranch_scc1 GW_B1_E1_177                        // jump if edges required
s_and_b32 s54, 255, s[sgprSizeJ]                   // s54 = s[sgprSizeJ] % 256
s_add_u32 s55, -0x1, s[sgprNumWorkGroups1]         // 
s_cmp_ge_u32 s[sgprWorkGroup1], s55                // wg1 >= nwg1-1
s_cselect_b32 s54, s54, 0                          // set rMT1
s_cmpk_gt_u32 s54, 0x0                             // rMT1 > 0
s_cbranch_scc1 GW_B1_E1_177                        // jump if edges required
GW_B1_E0_174:

/* edge=0, allocate 2 sgpr. perBatchTmpS=2 perBatchMaskS=0 perElementMaskS=0 elementsPerBatch=28 */
/* optSingleColVgpr=1 optSharedColVgpr=0 optSGPRUsage=BufferLoad_Mask optSrdIncForRow=1 */

/******************************************/
/* Global Write Alpha Beta Batch #0 (d1,d0,vc1,vc0) = */
/*    (0,0,0,0:vw4); (0,0,1,0:vw4); (0,0,2,0:vw4); (0,0,3,0:vw4); (0,0,4,0:vw4); (0,0,5,0:vw4); (0,0,6,0:vw4); (0,0,7,0:vw4); (1,0,0,0:vw4); (1,0,1,0:vw4); (1,0,2,0:vw4); (1,0,3,0:vw4); (1,0,4,0:vw4); (1,0,5,0:vw4); (1,0,6,0:vw4); (1,0,7,0:vw4); (2,0,0,0:vw4); (2,0,1,0:vw4); (2,0,2,0:vw4); (2,0,3,0:vw4); (2,0,4,0:vw4); (2,0,5,0:vw4); (2,0,6,0:vw4); (2,0,7,0:vw4); (3,0,0,0:vw4); (3,0,1,0:vw4); (3,0,2,0:vw4); (3,0,3,0:vw4) */
/******************************************/

/* calc coords, apply mask, and issue loads (if necessary) */
/* (d1,vc1,d0,vc0)=(0,0,0,0) */
_v_add_lshl_u32 v7, v2, v0, 0x2                    // optSingleColVgpr scaleToBpe: sharedAddrVgpr <- cinRowPtr + coord0, scaled by BPE. BSHERE:coord0=0, coord0Vgpr=0
_buffer_load_b128 v[8:11], v7, s[sgprSrdC:sgprSrdC+3], 0, offen offset:0 // load C for beta calc
/* (d1,vc1,d0,vc0)=(0,1,0,0) */
s_lshl_b32  s54, s[sgprStrideC1J], 2               // incToNextRow: Scale by BPE
s_add_u32  s[sgprSrdC+0], s[sgprSrdC+0], s54       // incToNextRow: gra SRD += inc(lower)
s_addc_u32  s[sgprSrdC+1], s[sgprSrdC+1], 0        // incToNextRow: gra SRD += inc(upper)
_buffer_load_b128 v[16:19], v7, s[sgprSrdC:sgprSrdC+3], 0, offen offset:0 // load C for beta calc
/* (d1,vc1,d0,vc0)=(0,2,0,0) */
s_lshl_b32  s54, s[sgprStrideC1J], 2               // incToNextRow: Scale by BPE
s_add_u32  s[sgprSrdC+0], s[sgprSrdC+0], s54       // incToNextRow: gra SRD += inc(lower)
s_addc_u32  s[sgprSrdC+1], s[sgprSrdC+1], 0        // incToNextRow: gra SRD += inc(upper)
_buffer_load_b128 v[24:27], v7, s[sgprSrdC:sgprSrdC+3], 0, offen offset:0 // load C for beta calc
/* (d1,vc1,d0,vc0)=(0,3,0,0) */
s_lshl_b32  s54, s[sgprStrideC1J], 2               // incToNextRow: Scale by BPE
s_add_u32  s[sgprSrdC+0], s[sgprSrdC+0], s54       // incToNextRow: gra SRD += inc(lower)
s_addc_u32  s[sgprSrdC+1], s[sgprSrdC+1], 0        // incToNextRow: gra SRD += inc(upper)
_buffer_load_b128 v[32:35], v7, s[sgprSrdC:sgprSrdC+3], 0, offen offset:0 // load C for beta calc
/* (d1,vc1,d0,vc0)=(0,4,0,0) */
s_lshl_b32  s54, s[sgprStrideC1J], 2               // incToNextRow: Scale by BPE
s_add_u32  s[sgprSrdC+0], s[sgprSrdC+0], s54       // incToNextRow: gra SRD += inc(lower)
s_addc_u32  s[sgprSrdC+1], s[sgprSrdC+1], 0        // incToNextRow: gra SRD += inc(upper)
_buffer_load_b128 v[40:43], v7, s[sgprSrdC:sgprSrdC+3], 0, offen offset:0 // load C for beta calc
/* (d1,vc1,d0,vc0)=(0,5,0,0) */
s_lshl_b32  s54, s[sgprStrideC1J], 2               // incToNextRow: Scale by BPE
s_add_u32  s[sgprSrdC+0], s[sgprSrdC+0], s54       // incToNextRow: gra SRD += inc(lower)
s_addc_u32  s[sgprSrdC+1], s[sgprSrdC+1], 0        // incToNextRow: gra SRD += inc(upper)
_buffer_load_b128 v[48:51], v7, s[sgprSrdC:sgprSrdC+3], 0, offen offset:0 // load C for beta calc
/* (d1,vc1,d0,vc0)=(0,6,0,0) */
s_lshl_b32  s54, s[sgprStrideC1J], 2               // incToNextRow: Scale by BPE
s_add_u32  s[sgprSrdC+0], s[sgprSrdC+0], s54       // incToNextRow: gra SRD += inc(lower)
s_addc_u32  s[sgprSrdC+1], s[sgprSrdC+1], 0        // incToNextRow: gra SRD += inc(upper)
_buffer_load_b128 v[64:67], v7, s[sgprSrdC:sgprSrdC+3], 0, offen offset:0 // load C for beta calc
/* (d1,vc1,d0,vc0)=(0,7,0,0) */
s_lshl_b32  s54, s[sgprStrideC1J], 2               // incToNextRow: Scale by BPE
s_add_u32  s[sgprSrdC+0], s[sgprSrdC+0], s54       // incToNextRow: gra SRD += inc(lower)
s_addc_u32  s[sgprSrdC+1], s[sgprSrdC+1], 0        // incToNextRow: gra SRD += inc(upper)
_buffer_load_b128 v[72:75], v7, s[sgprSrdC:sgprSrdC+3], 0, offen offset:0 // load C for beta calc
/* (d1,vc1,d0,vc0)=(1,0,0,0) */
s_mul_i32 s54, s[sgprStrideC1J], 36                // scale StrideC *= numRows(9) * bpe
s_add_u32  s[sgprSrdC+0], s[sgprSrdC+0], s54       // incToNextRow: gra SRD += inc(lower)
s_addc_u32  s[sgprSrdC+1], s[sgprSrdC+1], 0        // incToNextRow: gra SRD += inc(upper)
_buffer_load_b128 v[80:83], v7, s[sgprSrdC:sgprSrdC+3], 0, offen offset:0 // load C for beta calc
/* (d1,vc1,d0,vc0)=(1,1,0,0) */
s_lshl_b32  s54, s[sgprStrideC1J], 2               // incToNextRow: Scale by BPE
s_add_u32  s[sgprSrdC+0], s[sgprSrdC+0], s54       // incToNextRow: gra SRD += inc(lower)
s_addc_u32  s[sgprSrdC+1], s[sgprSrdC+1], 0        // incToNextRow: gra SRD += inc(upper)
_buffer_load_b128 v[88:91], v7, s[sgprSrdC:sgprSrdC+3], 0, offen offset:0 // load C for beta calc
/* (d1,vc1,d0,vc0)=(1,2,0,0) */
s_lshl_b32  s54, s[sgprStrideC1J], 2               // incToNextRow: Scale by BPE
s_add_u32  s[sgprSrdC+0], s[sgprSrdC+0], s54       // incToNextRow: gra SRD += inc(lower)
s_addc_u32  s[sgprSrdC+1], s[sgprSrdC+1], 0        // incToNextRow: gra SRD += inc(upper)
_buffer_load_b128 v[96:99], v7, s[sgprSrdC:sgprSrdC+3], 0, offen offset:0 // load C for beta calc
/* (d1,vc1,d0,vc0)=(1,3,0,0) */
s_lshl_b32  s54, s[sgprStrideC1J], 2               // incToNextRow: Scale by BPE
s_add_u32  s[sgprSrdC+0], s[sgprSrdC+0], s54       // incToNextRow: gra SRD += inc(lower)
s_addc_u32  s[sgprSrdC+1], s[sgprSrdC+1], 0        // incToNextRow: gra SRD += inc(upper)
_buffer_load_b128 v[104:107], v7, s[sgprSrdC:sgprSrdC+3], 0, offen offset:0 // load C for beta calc
/* (d1,vc1,d0,vc0)=(1,4,0,0) */
s_lshl_b32  s54, s[sgprStrideC1J], 2               // incToNextRow: Scale by BPE
s_add_u32  s[sgprSrdC+0], s[sgprSrdC+0], s54       // incToNextRow: gra SRD += inc(lower)
s_addc_u32  s[sgprSrdC+1], s[sgprSrdC+1], 0        // incToNextRow: gra SRD += inc(upper)
_buffer_load_b128 v[112:115], v7, s[sgprSrdC:sgprSrdC+3], 0, offen offset:0 // load C for beta calc
/* (d1,vc1,d0,vc0)=(1,5,0,0) */
s_lshl_b32  s54, s[sgprStrideC1J], 2               // incToNextRow: Scale by BPE
s_add_u32  s[sgprSrdC+0], s[sgprSrdC+0], s54       // incToNextRow: gra SRD += inc(lower)
s_addc_u32  s[sgprSrdC+1], s[sgprSrdC+1], 0        // incToNextRow: gra SRD += inc(upper)
_buffer_load_b128 v[120:123], v7, s[sgprSrdC:sgprSrdC+3], 0, offen offset:0 // load C for beta calc
/* (d1,vc1,d0,vc0)=(1,6,0,0) */
s_lshl_b32  s54, s[sgprStrideC1J], 2               // incToNextRow: Scale by BPE
s_add_u32  s[sgprSrdC+0], s[sgprSrdC+0], s54       // incToNextRow: gra SRD += inc(lower)
s_addc_u32  s[sgprSrdC+1], s[sgprSrdC+1], 0        // incToNextRow: gra SRD += inc(upper)
_buffer_load_b128 v[128:131], v7, s[sgprSrdC:sgprSrdC+3], 0, offen offset:0 // load C for beta calc
/* (d1,vc1,d0,vc0)=(1,7,0,0) */
s_lshl_b32  s54, s[sgprStrideC1J], 2               // incToNextRow: Scale by BPE
s_add_u32  s[sgprSrdC+0], s[sgprSrdC+0], s54       // incToNextRow: gra SRD += inc(lower)
s_addc_u32  s[sgprSrdC+1], s[sgprSrdC+1], 0        // incToNextRow: gra SRD += inc(upper)
_buffer_load_b128 v[136:139], v7, s[sgprSrdC:sgprSrdC+3], 0, offen offset:0 // load C for beta calc
/* (d1,vc1,d0,vc0)=(2,0,0,0) */
s_mul_i32 s54, s[sgprStrideC1J], 36                // scale StrideC *= numRows(9) * bpe
s_add_u32  s[sgprSrdC+0], s[sgprSrdC+0], s54       // incToNextRow: gra SRD += inc(lower)
s_addc_u32  s[sgprSrdC+1], s[sgprSrdC+1], 0        // incToNextRow: gra SRD += inc(upper)
	;; [unrolled: 40-line block ×3, first 2 shown]
_buffer_load_b128 v[208:211], v7, s[sgprSrdC:sgprSrdC+3], 0, offen offset:0 // load C for beta calc
/* (d1,vc1,d0,vc0)=(3,1,0,0) */
s_lshl_b32  s54, s[sgprStrideC1J], 2               // incToNextRow: Scale by BPE
s_add_u32  s[sgprSrdC+0], s[sgprSrdC+0], s54       // incToNextRow: gra SRD += inc(lower)
s_addc_u32  s[sgprSrdC+1], s[sgprSrdC+1], 0        // incToNextRow: gra SRD += inc(upper)
_buffer_load_b128 v[216:219], v7, s[sgprSrdC:sgprSrdC+3], 0, offen offset:0 // load C for beta calc
/* (d1,vc1,d0,vc0)=(3,2,0,0) */
s_lshl_b32  s54, s[sgprStrideC1J], 2               // incToNextRow: Scale by BPE
s_add_u32  s[sgprSrdC+0], s[sgprSrdC+0], s54       // incToNextRow: gra SRD += inc(lower)
s_addc_u32  s[sgprSrdC+1], s[sgprSrdC+1], 0        // incToNextRow: gra SRD += inc(upper)
	;; [unrolled: 5-line block ×3, first 2 shown]
_buffer_load_b128 v[232:235], v7, s[sgprSrdC:sgprSrdC+3], 0, offen offset:0 // load C for beta calc
_v_add_lshl_u32 v6, v3, v0, 0x2                    // optSingleColVgpr scaleToBpe: sharedAddrVgpr <- cinRowPtr + coord0, scaled by BPE. BSHERE:coord0=0, coord0Vgpr=0
v_accvgpr_read_b32 v[vgprValuC+12], acc0 // copy acc to vreg[0]
v_accvgpr_read_b32 v[vgprValuC+13], acc16 // copy acc to vreg[1]
v_accvgpr_read_b32 v[vgprValuC+14], acc32 // copy acc to vreg[2]
v_accvgpr_read_b32 v[vgprValuC+15], acc48 // copy acc to vreg[3]
v_accvgpr_read_b32 v[vgprValuC+20], acc64 // copy acc to vreg[4]
v_accvgpr_read_b32 v[vgprValuC+21], acc80 // copy acc to vreg[5]
v_accvgpr_read_b32 v[vgprValuC+22], acc96 // copy acc to vreg[6]
v_accvgpr_read_b32 v[vgprValuC+23], acc112 // copy acc to vreg[7]
v_accvgpr_read_b32 v[vgprValuC+28], acc1 // copy acc to vreg[8]
v_accvgpr_read_b32 v[vgprValuC+29], acc17 // copy acc to vreg[9]
v_accvgpr_read_b32 v[vgprValuC+30], acc33 // copy acc to vreg[10]
v_accvgpr_read_b32 v[vgprValuC+31], acc49 // copy acc to vreg[11]
v_accvgpr_read_b32 v[vgprValuC+36], acc65 // copy acc to vreg[12]
v_accvgpr_read_b32 v[vgprValuC+37], acc81 // copy acc to vreg[13]
v_accvgpr_read_b32 v[vgprValuC+38], acc97 // copy acc to vreg[14]
v_accvgpr_read_b32 v[vgprValuC+39], acc113 // copy acc to vreg[15]
v_accvgpr_read_b32 v[vgprValuC+44], acc2 // copy acc to vreg[16]
v_accvgpr_read_b32 v[vgprValuC+45], acc18 // copy acc to vreg[17]
v_accvgpr_read_b32 v[vgprValuC+46], acc34 // copy acc to vreg[18]
v_accvgpr_read_b32 v[vgprValuC+47], acc50 // copy acc to vreg[19]
v_accvgpr_read_b32 v[vgprValuC+60], acc66 // copy acc to vreg[20]
v_accvgpr_read_b32 v[vgprValuC+61], acc82 // copy acc to vreg[21]
v_accvgpr_read_b32 v[vgprValuC+62], acc98 // copy acc to vreg[22]
v_accvgpr_read_b32 v[vgprValuC+63], acc114 // copy acc to vreg[23]
v_accvgpr_read_b32 v[vgprValuC+68], acc3 // copy acc to vreg[24]
v_accvgpr_read_b32 v[vgprValuC+69], acc19 // copy acc to vreg[25]
v_accvgpr_read_b32 v[vgprValuC+70], acc35 // copy acc to vreg[26]
v_accvgpr_read_b32 v[vgprValuC+71], acc51 // copy acc to vreg[27]
v_accvgpr_read_b32 v[vgprValuC+76], acc67 // copy acc to vreg[28]
v_accvgpr_read_b32 v[vgprValuC+77], acc83 // copy acc to vreg[29]
v_accvgpr_read_b32 v[vgprValuC+78], acc99 // copy acc to vreg[30]
v_accvgpr_read_b32 v[vgprValuC+79], acc115 // copy acc to vreg[31]
v_accvgpr_read_b32 v[vgprValuC+84], acc4 // copy acc to vreg[32]
v_accvgpr_read_b32 v[vgprValuC+85], acc20 // copy acc to vreg[33]
v_accvgpr_read_b32 v[vgprValuC+86], acc36 // copy acc to vreg[34]
v_accvgpr_read_b32 v[vgprValuC+87], acc52 // copy acc to vreg[35]
v_accvgpr_read_b32 v[vgprValuC+92], acc68 // copy acc to vreg[36]
v_accvgpr_read_b32 v[vgprValuC+93], acc84 // copy acc to vreg[37]
v_accvgpr_read_b32 v[vgprValuC+94], acc100 // copy acc to vreg[38]
v_accvgpr_read_b32 v[vgprValuC+95], acc116 // copy acc to vreg[39]
v_accvgpr_read_b32 v[vgprValuC+100], acc5 // copy acc to vreg[40]
v_accvgpr_read_b32 v[vgprValuC+101], acc21 // copy acc to vreg[41]
v_accvgpr_read_b32 v[vgprValuC+102], acc37 // copy acc to vreg[42]
v_accvgpr_read_b32 v[vgprValuC+103], acc53 // copy acc to vreg[43]
v_accvgpr_read_b32 v[vgprValuC+108], acc69 // copy acc to vreg[44]
v_accvgpr_read_b32 v[vgprValuC+109], acc85 // copy acc to vreg[45]
v_accvgpr_read_b32 v[vgprValuC+110], acc101 // copy acc to vreg[46]
v_accvgpr_read_b32 v[vgprValuC+111], acc117 // copy acc to vreg[47]
v_accvgpr_read_b32 v[vgprValuC+116], acc6 // copy acc to vreg[48]
v_accvgpr_read_b32 v[vgprValuC+117], acc22 // copy acc to vreg[49]
v_accvgpr_read_b32 v[vgprValuC+118], acc38 // copy acc to vreg[50]
v_accvgpr_read_b32 v[vgprValuC+119], acc54 // copy acc to vreg[51]
v_accvgpr_read_b32 v[vgprValuC+124], acc70 // copy acc to vreg[52]
v_accvgpr_read_b32 v[vgprValuC+125], acc86 // copy acc to vreg[53]
v_accvgpr_read_b32 v[vgprValuC+126], acc102 // copy acc to vreg[54]
v_accvgpr_read_b32 v[vgprValuC+127], acc118 // copy acc to vreg[55]
v_accvgpr_read_b32 v[vgprValuC+132], acc7 // copy acc to vreg[56]
v_accvgpr_read_b32 v[vgprValuC+133], acc23 // copy acc to vreg[57]
v_accvgpr_read_b32 v[vgprValuC+134], acc39 // copy acc to vreg[58]
v_accvgpr_read_b32 v[vgprValuC+135], acc55 // copy acc to vreg[59]
v_accvgpr_read_b32 v[vgprValuC+140], acc71 // copy acc to vreg[60]
v_accvgpr_read_b32 v[vgprValuC+141], acc87 // copy acc to vreg[61]
v_accvgpr_read_b32 v[vgprValuC+142], acc103 // copy acc to vreg[62]
v_accvgpr_read_b32 v[vgprValuC+143], acc119 // copy acc to vreg[63]
v_accvgpr_read_b32 v[vgprValuC+148], acc8 // copy acc to vreg[64]
v_accvgpr_read_b32 v[vgprValuC+149], acc24 // copy acc to vreg[65]
v_accvgpr_read_b32 v[vgprValuC+150], acc40 // copy acc to vreg[66]
v_accvgpr_read_b32 v[vgprValuC+151], acc56 // copy acc to vreg[67]
v_accvgpr_read_b32 v[vgprValuC+156], acc72 // copy acc to vreg[68]
v_accvgpr_read_b32 v[vgprValuC+157], acc88 // copy acc to vreg[69]
v_accvgpr_read_b32 v[vgprValuC+158], acc104 // copy acc to vreg[70]
v_accvgpr_read_b32 v[vgprValuC+159], acc120 // copy acc to vreg[71]
v_accvgpr_read_b32 v[vgprValuC+164], acc9 // copy acc to vreg[72]
v_accvgpr_read_b32 v[vgprValuC+165], acc25 // copy acc to vreg[73]
v_accvgpr_read_b32 v[vgprValuC+166], acc41 // copy acc to vreg[74]
v_accvgpr_read_b32 v[vgprValuC+167], acc57 // copy acc to vreg[75]
v_accvgpr_read_b32 v[vgprValuC+172], acc73 // copy acc to vreg[76]
v_accvgpr_read_b32 v[vgprValuC+173], acc89 // copy acc to vreg[77]
v_accvgpr_read_b32 v[vgprValuC+174], acc105 // copy acc to vreg[78]
v_accvgpr_read_b32 v[vgprValuC+175], acc121 // copy acc to vreg[79]
v_accvgpr_read_b32 v[vgprValuC+180], acc10 // copy acc to vreg[80]
v_accvgpr_read_b32 v[vgprValuC+181], acc26 // copy acc to vreg[81]
v_accvgpr_read_b32 v[vgprValuC+182], acc42 // copy acc to vreg[82]
v_accvgpr_read_b32 v[vgprValuC+183], acc58 // copy acc to vreg[83]
v_accvgpr_read_b32 v[vgprValuC+188], acc74 // copy acc to vreg[84]
v_accvgpr_read_b32 v[vgprValuC+189], acc90 // copy acc to vreg[85]
v_accvgpr_read_b32 v[vgprValuC+190], acc106 // copy acc to vreg[86]
v_accvgpr_read_b32 v[vgprValuC+191], acc122 // copy acc to vreg[87]
v_accvgpr_read_b32 v[vgprValuC+196], acc11 // copy acc to vreg[88]
v_accvgpr_read_b32 v[vgprValuC+197], acc27 // copy acc to vreg[89]
v_accvgpr_read_b32 v[vgprValuC+198], acc43 // copy acc to vreg[90]
v_accvgpr_read_b32 v[vgprValuC+199], acc59 // copy acc to vreg[91]
v_accvgpr_read_b32 v[vgprValuC+204], acc75 // copy acc to vreg[92]
v_accvgpr_read_b32 v[vgprValuC+205], acc91 // copy acc to vreg[93]
v_accvgpr_read_b32 v[vgprValuC+206], acc107 // copy acc to vreg[94]
v_accvgpr_read_b32 v[vgprValuC+207], acc123 // copy acc to vreg[95]
v_accvgpr_read_b32 v[vgprValuC+212], acc12 // copy acc to vreg[96]
v_accvgpr_read_b32 v[vgprValuC+213], acc28 // copy acc to vreg[97]
v_accvgpr_read_b32 v[vgprValuC+214], acc44 // copy acc to vreg[98]
v_accvgpr_read_b32 v[vgprValuC+215], acc60 // copy acc to vreg[99]
v_accvgpr_read_b32 v[vgprValuC+220], acc76 // copy acc to vreg[100]
v_accvgpr_read_b32 v[vgprValuC+221], acc92 // copy acc to vreg[101]
v_accvgpr_read_b32 v[vgprValuC+222], acc108 // copy acc to vreg[102]
v_accvgpr_read_b32 v[vgprValuC+223], acc124 // copy acc to vreg[103]
v_accvgpr_read_b32 v[vgprValuC+228], acc13 // copy acc to vreg[104]
v_accvgpr_read_b32 v[vgprValuC+229], acc29 // copy acc to vreg[105]
v_accvgpr_read_b32 v[vgprValuC+230], acc45 // copy acc to vreg[106]
v_accvgpr_read_b32 v[vgprValuC+231], acc61 // copy acc to vreg[107]
v_accvgpr_read_b32 v[vgprValuC+236], acc77 // copy acc to vreg[108]
v_accvgpr_read_b32 v[vgprValuC+237], acc93 // copy acc to vreg[109]
v_accvgpr_read_b32 v[vgprValuC+238], acc109 // copy acc to vreg[110]
v_accvgpr_read_b32 v[vgprValuC+239], acc125 // copy acc to vreg[111]
s_nop 1                                            // 2 wait states required before reading vgpr

/* rC *= alpha batchElements=[(0, 0, 0, 0), (0, 0, 1, 0), (0, 0, 2, 0), (0, 0, 3, 0), (0, 0, 4, 0), (0, 0, 5, 0), (0, 0, 6, 0), (0, 0, 7, 0), (1, 0, 0, 0), (1, 0, 1, 0), (1, 0, 2, 0), (1, 0, 3, 0), (1, 0, 4, 0), (1, 0, 5, 0), (1, 0, 6, 0), (1, 0, 7, 0), (2, 0, 0, 0), (2, 0, 1, 0), (2, 0, 2, 0), (2, 0, 3, 0), (2, 0, 4, 0), (2, 0, 5, 0), (2, 0, 6, 0), (2, 0, 7, 0), (3, 0, 0, 0), (3, 0, 1, 0), (3, 0, 2, 0), (3, 0, 3, 0)] */
v_mul_f32 v[vgprValuC+12], s[sgprAlpha], v[vgprValuC+12] // *= alpha
v_mul_f32 v[vgprValuC+13], s[sgprAlpha], v[vgprValuC+13] // *= alpha
	;; [unrolled: 1-line block ×112, first 2 shown]

/* apply mask, calc new C and issue writes */

s_waitcnt vmcnt(27)                                // wait C (interleaved) 27 = 28 - 0 + 0 - 1
_v_mac_f32 v[vgprValuC+12], v8, s[sgprBeta]        // finalSum = sum*alpha + C*beta
_v_mac_f32 v[vgprValuC+13], v9, s[sgprBeta]        // finalSum = sum*alpha + C*beta
_v_mac_f32 v[vgprValuC+14], v10, s[sgprBeta]       // finalSum = sum*alpha + C*beta
_v_mac_f32 v[vgprValuC+15], v11, s[sgprBeta]       // finalSum = sum*alpha + C*beta
_buffer_store_b128 v[12:15], v6, s[sgprSrdD:sgprSrdD+3], 0, offen, offset:0 // store D

s_waitcnt vmcnt(27)                                // wait C (interleaved) 27 = 28 - 1 + 1 - 1
_v_mac_f32 v[vgprValuC+20], v16, s[sgprBeta]       // finalSum = sum*alpha + C*beta
_v_mac_f32 v[vgprValuC+21], v17, s[sgprBeta]       // finalSum = sum*alpha + C*beta
_v_mac_f32 v[vgprValuC+22], v18, s[sgprBeta]       // finalSum = sum*alpha + C*beta
_v_mac_f32 v[vgprValuC+23], v19, s[sgprBeta]       // finalSum = sum*alpha + C*beta
s_lshl_b32  s54, s[sgprStrideD1J], 2               // incToNextRow: Scale by BPE
s_add_u32  s[sgprSrdD+0], s[sgprSrdD+0], s54       // incToNextRow: gra SRD += inc(lower)
s_addc_u32  s[sgprSrdD+1], s[sgprSrdD+1], 0        // incToNextRow: gra SRD += inc(upper)
_buffer_store_b128 v[20:23], v6, s[sgprSrdD:sgprSrdD+3], 0, offen, offset:0 // store D

s_waitcnt vmcnt(27)                                // wait C (interleaved) 27 = 28 - 2 + 2 - 1
_v_mac_f32 v[vgprValuC+28], v24, s[sgprBeta]       // finalSum = sum*alpha + C*beta
_v_mac_f32 v[vgprValuC+29], v25, s[sgprBeta]       // finalSum = sum*alpha + C*beta
_v_mac_f32 v[vgprValuC+30], v26, s[sgprBeta]       // finalSum = sum*alpha + C*beta
_v_mac_f32 v[vgprValuC+31], v27, s[sgprBeta]       // finalSum = sum*alpha + C*beta
s_lshl_b32  s54, s[sgprStrideD1J], 2               // incToNextRow: Scale by BPE
s_add_u32  s[sgprSrdD+0], s[sgprSrdD+0], s54       // incToNextRow: gra SRD += inc(lower)
s_addc_u32  s[sgprSrdD+1], s[sgprSrdD+1], 0        // incToNextRow: gra SRD += inc(upper)
	;; [unrolled: 10-line block ×7, first 2 shown]
_buffer_store_b128 v[76:79], v6, s[sgprSrdD:sgprSrdD+3], 0, offen, offset:0 // store D

s_waitcnt vmcnt(27)                                // wait C (interleaved) 27 = 28 - 8 + 8 - 1
_v_mac_f32 v[vgprValuC+84], v80, s[sgprBeta]       // finalSum = sum*alpha + C*beta
_v_mac_f32 v[vgprValuC+85], v81, s[sgprBeta]       // finalSum = sum*alpha + C*beta
_v_mac_f32 v[vgprValuC+86], v82, s[sgprBeta]       // finalSum = sum*alpha + C*beta
_v_mac_f32 v[vgprValuC+87], v83, s[sgprBeta]       // finalSum = sum*alpha + C*beta
s_mul_i32 s54, s[sgprStrideD1J], 36                // scale StrideD *= numRows(9) * bpe
s_add_u32  s[sgprSrdD+0], s[sgprSrdD+0], s54       // incToNextRow: gra SRD += inc(lower)
s_addc_u32  s[sgprSrdD+1], s[sgprSrdD+1], 0        // incToNextRow: gra SRD += inc(upper)
_buffer_store_b128 v[84:87], v6, s[sgprSrdD:sgprSrdD+3], 0, offen, offset:0 // store D

s_waitcnt vmcnt(27)                                // wait C (interleaved) 27 = 28 - 9 + 9 - 1
_v_mac_f32 v[vgprValuC+92], v88, s[sgprBeta]       // finalSum = sum*alpha + C*beta
_v_mac_f32 v[vgprValuC+93], v89, s[sgprBeta]       // finalSum = sum*alpha + C*beta
	;; [unrolled: 1-line block ×4, first 2 shown]
s_lshl_b32  s54, s[sgprStrideD1J], 2               // incToNextRow: Scale by BPE
s_add_u32  s[sgprSrdD+0], s[sgprSrdD+0], s54       // incToNextRow: gra SRD += inc(lower)
s_addc_u32  s[sgprSrdD+1], s[sgprSrdD+1], 0        // incToNextRow: gra SRD += inc(upper)
_buffer_store_b128 v[92:95], v6, s[sgprSrdD:sgprSrdD+3], 0, offen, offset:0 // store D

s_waitcnt vmcnt(27)                                // wait C (interleaved) 27 = 28 - 10 + 10 - 1
_v_mac_f32 v[vgprValuC+100], v96, s[sgprBeta]      // finalSum = sum*alpha + C*beta
_v_mac_f32 v[vgprValuC+101], v97, s[sgprBeta]      // finalSum = sum*alpha + C*beta
	;; [unrolled: 1-line block ×4, first 2 shown]
s_lshl_b32  s54, s[sgprStrideD1J], 2               // incToNextRow: Scale by BPE
s_add_u32  s[sgprSrdD+0], s[sgprSrdD+0], s54       // incToNextRow: gra SRD += inc(lower)
s_addc_u32  s[sgprSrdD+1], s[sgprSrdD+1], 0        // incToNextRow: gra SRD += inc(upper)
_buffer_store_b128 v[100:103], v6, s[sgprSrdD:sgprSrdD+3], 0, offen, offset:0 // store D

s_waitcnt vmcnt(27)                                // wait C (interleaved) 27 = 28 - 11 + 11 - 1
_v_mac_f32 v[vgprValuC+108], v104, s[sgprBeta]     // finalSum = sum*alpha + C*beta
_v_mac_f32 v[vgprValuC+109], v105, s[sgprBeta]     // finalSum = sum*alpha + C*beta
_v_mac_f32 v[vgprValuC+110], v106, s[sgprBeta]     // finalSum = sum*alpha + C*beta
_v_mac_f32 v[vgprValuC+111], v107, s[sgprBeta]     // finalSum = sum*alpha + C*beta
s_lshl_b32  s54, s[sgprStrideD1J], 2               // incToNextRow: Scale by BPE
s_add_u32  s[sgprSrdD+0], s[sgprSrdD+0], s54       // incToNextRow: gra SRD += inc(lower)
s_addc_u32  s[sgprSrdD+1], s[sgprSrdD+1], 0        // incToNextRow: gra SRD += inc(upper)
_buffer_store_b128 v[108:111], v6, s[sgprSrdD:sgprSrdD+3], 0, offen, offset:0 // store D

s_waitcnt vmcnt(27)                                // wait C (interleaved) 27 = 28 - 12 + 12 - 1
_v_mac_f32 v[vgprValuC+116], v112, s[sgprBeta]     // finalSum = sum*alpha + C*beta
_v_mac_f32 v[vgprValuC+117], v113, s[sgprBeta]     // finalSum = sum*alpha + C*beta
_v_mac_f32 v[vgprValuC+118], v114, s[sgprBeta]     // finalSum = sum*alpha + C*beta
_v_mac_f32 v[vgprValuC+119], v115, s[sgprBeta]     // finalSum = sum*alpha + C*beta
	;; [unrolled: 10-line block ×6, first 2 shown]
s_mul_i32 s54, s[sgprStrideD1J], 36                // scale StrideD *= numRows(9) * bpe
s_add_u32  s[sgprSrdD+0], s[sgprSrdD+0], s54       // incToNextRow: gra SRD += inc(lower)
s_addc_u32  s[sgprSrdD+1], s[sgprSrdD+1], 0        // incToNextRow: gra SRD += inc(upper)
_buffer_store_b128 v[148:151], v6, s[sgprSrdD:sgprSrdD+3], 0, offen, offset:0 // store D

s_waitcnt vmcnt(27)                                // wait C (interleaved) 27 = 28 - 17 + 17 - 1
_v_mac_f32 v[vgprValuC+156], v152, s[sgprBeta]     // finalSum = sum*alpha + C*beta
_v_mac_f32 v[vgprValuC+157], v153, s[sgprBeta]     // finalSum = sum*alpha + C*beta
_v_mac_f32 v[vgprValuC+158], v154, s[sgprBeta]     // finalSum = sum*alpha + C*beta
_v_mac_f32 v[vgprValuC+159], v155, s[sgprBeta]     // finalSum = sum*alpha + C*beta
s_lshl_b32  s54, s[sgprStrideD1J], 2               // incToNextRow: Scale by BPE
s_add_u32  s[sgprSrdD+0], s[sgprSrdD+0], s54       // incToNextRow: gra SRD += inc(lower)
s_addc_u32  s[sgprSrdD+1], s[sgprSrdD+1], 0        // incToNextRow: gra SRD += inc(upper)
_buffer_store_b128 v[156:159], v6, s[sgprSrdD:sgprSrdD+3], 0, offen, offset:0 // store D

s_waitcnt vmcnt(27)                                // wait C (interleaved) 27 = 28 - 18 + 18 - 1
_v_mac_f32 v[vgprValuC+164], v160, s[sgprBeta]     // finalSum = sum*alpha + C*beta
_v_mac_f32 v[vgprValuC+165], v161, s[sgprBeta]     // finalSum = sum*alpha + C*beta
_v_mac_f32 v[vgprValuC+166], v162, s[sgprBeta]     // finalSum = sum*alpha + C*beta
_v_mac_f32 v[vgprValuC+167], v163, s[sgprBeta]     // finalSum = sum*alpha + C*beta
s_lshl_b32  s54, s[sgprStrideD1J], 2               // incToNextRow: Scale by BPE
	;; [unrolled: 10-line block ×7, first 2 shown]
s_add_u32  s[sgprSrdD+0], s[sgprSrdD+0], s54       // incToNextRow: gra SRD += inc(lower)
s_addc_u32  s[sgprSrdD+1], s[sgprSrdD+1], 0        // incToNextRow: gra SRD += inc(upper)
_buffer_store_b128 v[204:207], v6, s[sgprSrdD:sgprSrdD+3], 0, offen, offset:0 // store D

s_waitcnt vmcnt(27)                                // wait C (interleaved) 27 = 28 - 24 + 24 - 1
_v_mac_f32 v[vgprValuC+212], v208, s[sgprBeta]     // finalSum = sum*alpha + C*beta
_v_mac_f32 v[vgprValuC+213], v209, s[sgprBeta]     // finalSum = sum*alpha + C*beta
	;; [unrolled: 1-line block ×4, first 2 shown]
s_mul_i32 s54, s[sgprStrideD1J], 36                // scale StrideD *= numRows(9) * bpe
s_add_u32  s[sgprSrdD+0], s[sgprSrdD+0], s54       // incToNextRow: gra SRD += inc(lower)
s_addc_u32  s[sgprSrdD+1], s[sgprSrdD+1], 0        // incToNextRow: gra SRD += inc(upper)
_buffer_store_b128 v[212:215], v6, s[sgprSrdD:sgprSrdD+3], 0, offen, offset:0 // store D

s_waitcnt vmcnt(27)                                // wait C (interleaved) 27 = 28 - 25 + 25 - 1
_v_mac_f32 v[vgprValuC+220], v216, s[sgprBeta]     // finalSum = sum*alpha + C*beta
_v_mac_f32 v[vgprValuC+221], v217, s[sgprBeta]     // finalSum = sum*alpha + C*beta
_v_mac_f32 v[vgprValuC+222], v218, s[sgprBeta]     // finalSum = sum*alpha + C*beta
_v_mac_f32 v[vgprValuC+223], v219, s[sgprBeta]     // finalSum = sum*alpha + C*beta
s_lshl_b32  s54, s[sgprStrideD1J], 2               // incToNextRow: Scale by BPE
s_add_u32  s[sgprSrdD+0], s[sgprSrdD+0], s54       // incToNextRow: gra SRD += inc(lower)
s_addc_u32  s[sgprSrdD+1], s[sgprSrdD+1], 0        // incToNextRow: gra SRD += inc(upper)
_buffer_store_b128 v[220:223], v6, s[sgprSrdD:sgprSrdD+3], 0, offen, offset:0 // store D

s_waitcnt vmcnt(27)                                // wait C (interleaved) 27 = 28 - 26 + 26 - 1
_v_mac_f32 v[vgprValuC+228], v224, s[sgprBeta]     // finalSum = sum*alpha + C*beta
_v_mac_f32 v[vgprValuC+229], v225, s[sgprBeta]     // finalSum = sum*alpha + C*beta
_v_mac_f32 v[vgprValuC+230], v226, s[sgprBeta]     // finalSum = sum*alpha + C*beta
_v_mac_f32 v[vgprValuC+231], v227, s[sgprBeta]     // finalSum = sum*alpha + C*beta
s_lshl_b32  s54, s[sgprStrideD1J], 2               // incToNextRow: Scale by BPE
	;; [unrolled: 10-line block ×3, first 2 shown]
s_add_u32  s[sgprSrdD+0], s[sgprSrdD+0], s54       // incToNextRow: gra SRD += inc(lower)
s_addc_u32  s[sgprSrdD+1], s[sgprSrdD+1], 0        // incToNextRow: gra SRD += inc(upper)
_buffer_store_b128 v[236:239], v6, s[sgprSrdD:sgprSrdD+3], 0, offen, offset:0 // store D
s_nop 0                                            // 1 wait state required when next inst writes vgprs held by previous dwordx4 store inst
/* optSingleColVgpr=1 optSharedColVgpr=0 optSGPRUsage=BufferLoad_Mask optSrdIncForRow=1 */

/******************************************/
/* Global Write Alpha Beta Batch #1 (d1,d0,vc1,vc0) = */
/*    (3,0,4,0:vw4); (3,0,5,0:vw4); (3,0,6,0:vw4); (3,0,7,0:vw4); (4,0,0,0:vw4); (4,0,1,0:vw4); (4,0,2,0:vw4); (4,0,3,0:vw4); (4,0,4,0:vw4); (4,0,5,0:vw4); (4,0,6,0:vw4); (4,0,7,0:vw4); (5,0,0,0:vw4); (5,0,1,0:vw4); (5,0,2,0:vw4); (5,0,3,0:vw4); (5,0,4,0:vw4); (5,0,5,0:vw4); (5,0,6,0:vw4); (5,0,7,0:vw4); (6,0,0,0:vw4); (6,0,1,0:vw4); (6,0,2,0:vw4); (6,0,3,0:vw4); (6,0,4,0:vw4); (6,0,5,0:vw4); (6,0,6,0:vw4); (6,0,7,0:vw4) */
/******************************************/

/* calc coords, apply mask, and issue loads (if necessary) */
/* (d1,vc1,d0,vc0)=(3,4,0,0) */
s_lshl_b32  s54, s[sgprStrideC1J], 2               // incToNextRow: Scale by BPE
s_add_u32  s[sgprSrdC+0], s[sgprSrdC+0], s54       // incToNextRow: gra SRD += inc(lower)
s_addc_u32  s[sgprSrdC+1], s[sgprSrdC+1], 0        // incToNextRow: gra SRD += inc(upper)
_buffer_load_b128 v[8:11], v7, s[sgprSrdC:sgprSrdC+3], 0, offen offset:0 // load C for beta calc
/* (d1,vc1,d0,vc0)=(3,5,0,0) */
s_lshl_b32  s54, s[sgprStrideC1J], 2               // incToNextRow: Scale by BPE
s_add_u32  s[sgprSrdC+0], s[sgprSrdC+0], s54       // incToNextRow: gra SRD += inc(lower)
s_addc_u32  s[sgprSrdC+1], s[sgprSrdC+1], 0        // incToNextRow: gra SRD += inc(upper)
_buffer_load_b128 v[16:19], v7, s[sgprSrdC:sgprSrdC+3], 0, offen offset:0 // load C for beta calc
	;; [unrolled: 5-line block ×4, first 2 shown]
/* (d1,vc1,d0,vc0)=(4,0,0,0) */
s_mul_i32 s54, s[sgprStrideC1J], 292               // scale StrideC *= numRows(73) * bpe
s_add_u32  s[sgprSrdC+0], s[sgprSrdC+0], s54       // incToNextRow: gra SRD += inc(lower)
s_addc_u32  s[sgprSrdC+1], s[sgprSrdC+1], 0        // incToNextRow: gra SRD += inc(upper)
_buffer_load_b128 v[40:43], v7, s[sgprSrdC:sgprSrdC+3], 0, offen offset:0 // load C for beta calc
/* (d1,vc1,d0,vc0)=(4,1,0,0) */
s_lshl_b32  s54, s[sgprStrideC1J], 2               // incToNextRow: Scale by BPE
s_add_u32  s[sgprSrdC+0], s[sgprSrdC+0], s54       // incToNextRow: gra SRD += inc(lower)
s_addc_u32  s[sgprSrdC+1], s[sgprSrdC+1], 0        // incToNextRow: gra SRD += inc(upper)
_buffer_load_b128 v[48:51], v7, s[sgprSrdC:sgprSrdC+3], 0, offen offset:0 // load C for beta calc
/* (d1,vc1,d0,vc0)=(4,2,0,0) */
s_lshl_b32  s54, s[sgprStrideC1J], 2               // incToNextRow: Scale by BPE
	;; [unrolled: 5-line block ×7, first 2 shown]
s_add_u32  s[sgprSrdC+0], s[sgprSrdC+0], s54       // incToNextRow: gra SRD += inc(lower)
s_addc_u32  s[sgprSrdC+1], s[sgprSrdC+1], 0        // incToNextRow: gra SRD += inc(upper)
_buffer_load_b128 v[104:107], v7, s[sgprSrdC:sgprSrdC+3], 0, offen offset:0 // load C for beta calc
/* (d1,vc1,d0,vc0)=(5,0,0,0) */
s_mul_i32 s54, s[sgprStrideC1J], 36                // scale StrideC *= numRows(9) * bpe
s_add_u32  s[sgprSrdC+0], s[sgprSrdC+0], s54       // incToNextRow: gra SRD += inc(lower)
s_addc_u32  s[sgprSrdC+1], s[sgprSrdC+1], 0        // incToNextRow: gra SRD += inc(upper)
_buffer_load_b128 v[112:115], v7, s[sgprSrdC:sgprSrdC+3], 0, offen offset:0 // load C for beta calc
/* (d1,vc1,d0,vc0)=(5,1,0,0) */
s_lshl_b32  s54, s[sgprStrideC1J], 2               // incToNextRow: Scale by BPE
s_add_u32  s[sgprSrdC+0], s[sgprSrdC+0], s54       // incToNextRow: gra SRD += inc(lower)
s_addc_u32  s[sgprSrdC+1], s[sgprSrdC+1], 0        // incToNextRow: gra SRD += inc(upper)
_buffer_load_b128 v[120:123], v7, s[sgprSrdC:sgprSrdC+3], 0, offen offset:0 // load C for beta calc
/* (d1,vc1,d0,vc0)=(5,2,0,0) */
s_lshl_b32  s54, s[sgprStrideC1J], 2               // incToNextRow: Scale by BPE
	;; [unrolled: 5-line block ×7, first 2 shown]
s_add_u32  s[sgprSrdC+0], s[sgprSrdC+0], s54       // incToNextRow: gra SRD += inc(lower)
s_addc_u32  s[sgprSrdC+1], s[sgprSrdC+1], 0        // incToNextRow: gra SRD += inc(upper)
_buffer_load_b128 v[168:171], v7, s[sgprSrdC:sgprSrdC+3], 0, offen offset:0 // load C for beta calc
/* (d1,vc1,d0,vc0)=(6,0,0,0) */
s_mul_i32 s54, s[sgprStrideC1J], 36                // scale StrideC *= numRows(9) * bpe
s_add_u32  s[sgprSrdC+0], s[sgprSrdC+0], s54       // incToNextRow: gra SRD += inc(lower)
s_addc_u32  s[sgprSrdC+1], s[sgprSrdC+1], 0        // incToNextRow: gra SRD += inc(upper)
_buffer_load_b128 v[176:179], v7, s[sgprSrdC:sgprSrdC+3], 0, offen offset:0 // load C for beta calc
/* (d1,vc1,d0,vc0)=(6,1,0,0) */
s_lshl_b32  s54, s[sgprStrideC1J], 2               // incToNextRow: Scale by BPE
s_add_u32  s[sgprSrdC+0], s[sgprSrdC+0], s54       // incToNextRow: gra SRD += inc(lower)
s_addc_u32  s[sgprSrdC+1], s[sgprSrdC+1], 0        // incToNextRow: gra SRD += inc(upper)
_buffer_load_b128 v[184:187], v7, s[sgprSrdC:sgprSrdC+3], 0, offen offset:0 // load C for beta calc
/* (d1,vc1,d0,vc0)=(6,2,0,0) */
s_lshl_b32  s54, s[sgprStrideC1J], 2               // incToNextRow: Scale by BPE
	;; [unrolled: 5-line block ×7, first 2 shown]
s_add_u32  s[sgprSrdC+0], s[sgprSrdC+0], s54       // incToNextRow: gra SRD += inc(lower)
s_addc_u32  s[sgprSrdC+1], s[sgprSrdC+1], 0        // incToNextRow: gra SRD += inc(upper)
_buffer_load_b128 v[232:235], v7, s[sgprSrdC:sgprSrdC+3], 0, offen offset:0 // load C for beta calc
v_accvgpr_read_b32 v[vgprValuC+12], acc14 // copy acc to vreg[112]
v_accvgpr_read_b32 v[vgprValuC+13], acc30 // copy acc to vreg[113]
v_accvgpr_read_b32 v[vgprValuC+14], acc46 // copy acc to vreg[114]
v_accvgpr_read_b32 v[vgprValuC+15], acc62 // copy acc to vreg[115]
v_accvgpr_read_b32 v[vgprValuC+20], acc78 // copy acc to vreg[116]
v_accvgpr_read_b32 v[vgprValuC+21], acc94 // copy acc to vreg[117]
v_accvgpr_read_b32 v[vgprValuC+22], acc110 // copy acc to vreg[118]
v_accvgpr_read_b32 v[vgprValuC+23], acc126 // copy acc to vreg[119]
v_accvgpr_read_b32 v[vgprValuC+28], acc15 // copy acc to vreg[120]
v_accvgpr_read_b32 v[vgprValuC+29], acc31 // copy acc to vreg[121]
v_accvgpr_read_b32 v[vgprValuC+30], acc47 // copy acc to vreg[122]
v_accvgpr_read_b32 v[vgprValuC+31], acc63 // copy acc to vreg[123]
v_accvgpr_read_b32 v[vgprValuC+36], acc79 // copy acc to vreg[124]
v_accvgpr_read_b32 v[vgprValuC+37], acc95 // copy acc to vreg[125]
v_accvgpr_read_b32 v[vgprValuC+38], acc111 // copy acc to vreg[126]
v_accvgpr_read_b32 v[vgprValuC+39], acc127 // copy acc to vreg[127]
v_accvgpr_read_b32 v[vgprValuC+44], acc128 // copy acc to vreg[128]
v_accvgpr_read_b32 v[vgprValuC+45], acc144 // copy acc to vreg[129]
v_accvgpr_read_b32 v[vgprValuC+46], acc160 // copy acc to vreg[130]
v_accvgpr_read_b32 v[vgprValuC+47], acc176 // copy acc to vreg[131]
v_accvgpr_read_b32 v[vgprValuC+60], acc192 // copy acc to vreg[132]
v_accvgpr_read_b32 v[vgprValuC+61], acc208 // copy acc to vreg[133]
v_accvgpr_read_b32 v[vgprValuC+62], acc224 // copy acc to vreg[134]
v_accvgpr_read_b32 v[vgprValuC+63], acc240 // copy acc to vreg[135]
v_accvgpr_read_b32 v[vgprValuC+68], acc129 // copy acc to vreg[136]
v_accvgpr_read_b32 v[vgprValuC+69], acc145 // copy acc to vreg[137]
v_accvgpr_read_b32 v[vgprValuC+70], acc161 // copy acc to vreg[138]
v_accvgpr_read_b32 v[vgprValuC+71], acc177 // copy acc to vreg[139]
v_accvgpr_read_b32 v[vgprValuC+76], acc193 // copy acc to vreg[140]
v_accvgpr_read_b32 v[vgprValuC+77], acc209 // copy acc to vreg[141]
v_accvgpr_read_b32 v[vgprValuC+78], acc225 // copy acc to vreg[142]
v_accvgpr_read_b32 v[vgprValuC+79], acc241 // copy acc to vreg[143]
v_accvgpr_read_b32 v[vgprValuC+84], acc130 // copy acc to vreg[144]
v_accvgpr_read_b32 v[vgprValuC+85], acc146 // copy acc to vreg[145]
v_accvgpr_read_b32 v[vgprValuC+86], acc162 // copy acc to vreg[146]
v_accvgpr_read_b32 v[vgprValuC+87], acc178 // copy acc to vreg[147]
v_accvgpr_read_b32 v[vgprValuC+92], acc194 // copy acc to vreg[148]
v_accvgpr_read_b32 v[vgprValuC+93], acc210 // copy acc to vreg[149]
v_accvgpr_read_b32 v[vgprValuC+94], acc226 // copy acc to vreg[150]
v_accvgpr_read_b32 v[vgprValuC+95], acc242 // copy acc to vreg[151]
v_accvgpr_read_b32 v[vgprValuC+100], acc131 // copy acc to vreg[152]
v_accvgpr_read_b32 v[vgprValuC+101], acc147 // copy acc to vreg[153]
v_accvgpr_read_b32 v[vgprValuC+102], acc163 // copy acc to vreg[154]
v_accvgpr_read_b32 v[vgprValuC+103], acc179 // copy acc to vreg[155]
v_accvgpr_read_b32 v[vgprValuC+108], acc195 // copy acc to vreg[156]
v_accvgpr_read_b32 v[vgprValuC+109], acc211 // copy acc to vreg[157]
v_accvgpr_read_b32 v[vgprValuC+110], acc227 // copy acc to vreg[158]
v_accvgpr_read_b32 v[vgprValuC+111], acc243 // copy acc to vreg[159]
v_accvgpr_read_b32 v[vgprValuC+116], acc132 // copy acc to vreg[160]
v_accvgpr_read_b32 v[vgprValuC+117], acc148 // copy acc to vreg[161]
v_accvgpr_read_b32 v[vgprValuC+118], acc164 // copy acc to vreg[162]
v_accvgpr_read_b32 v[vgprValuC+119], acc180 // copy acc to vreg[163]
v_accvgpr_read_b32 v[vgprValuC+124], acc196 // copy acc to vreg[164]
v_accvgpr_read_b32 v[vgprValuC+125], acc212 // copy acc to vreg[165]
v_accvgpr_read_b32 v[vgprValuC+126], acc228 // copy acc to vreg[166]
v_accvgpr_read_b32 v[vgprValuC+127], acc244 // copy acc to vreg[167]
v_accvgpr_read_b32 v[vgprValuC+132], acc133 // copy acc to vreg[168]
v_accvgpr_read_b32 v[vgprValuC+133], acc149 // copy acc to vreg[169]
v_accvgpr_read_b32 v[vgprValuC+134], acc165 // copy acc to vreg[170]
v_accvgpr_read_b32 v[vgprValuC+135], acc181 // copy acc to vreg[171]
v_accvgpr_read_b32 v[vgprValuC+140], acc197 // copy acc to vreg[172]
v_accvgpr_read_b32 v[vgprValuC+141], acc213 // copy acc to vreg[173]
v_accvgpr_read_b32 v[vgprValuC+142], acc229 // copy acc to vreg[174]
v_accvgpr_read_b32 v[vgprValuC+143], acc245 // copy acc to vreg[175]
v_accvgpr_read_b32 v[vgprValuC+148], acc134 // copy acc to vreg[176]
v_accvgpr_read_b32 v[vgprValuC+149], acc150 // copy acc to vreg[177]
v_accvgpr_read_b32 v[vgprValuC+150], acc166 // copy acc to vreg[178]
v_accvgpr_read_b32 v[vgprValuC+151], acc182 // copy acc to vreg[179]
v_accvgpr_read_b32 v[vgprValuC+156], acc198 // copy acc to vreg[180]
v_accvgpr_read_b32 v[vgprValuC+157], acc214 // copy acc to vreg[181]
v_accvgpr_read_b32 v[vgprValuC+158], acc230 // copy acc to vreg[182]
v_accvgpr_read_b32 v[vgprValuC+159], acc246 // copy acc to vreg[183]
v_accvgpr_read_b32 v[vgprValuC+164], acc135 // copy acc to vreg[184]
v_accvgpr_read_b32 v[vgprValuC+165], acc151 // copy acc to vreg[185]
v_accvgpr_read_b32 v[vgprValuC+166], acc167 // copy acc to vreg[186]
v_accvgpr_read_b32 v[vgprValuC+167], acc183 // copy acc to vreg[187]
v_accvgpr_read_b32 v[vgprValuC+172], acc199 // copy acc to vreg[188]
v_accvgpr_read_b32 v[vgprValuC+173], acc215 // copy acc to vreg[189]
v_accvgpr_read_b32 v[vgprValuC+174], acc231 // copy acc to vreg[190]
v_accvgpr_read_b32 v[vgprValuC+175], acc247 // copy acc to vreg[191]
v_accvgpr_read_b32 v[vgprValuC+180], acc136 // copy acc to vreg[192]
v_accvgpr_read_b32 v[vgprValuC+181], acc152 // copy acc to vreg[193]
v_accvgpr_read_b32 v[vgprValuC+182], acc168 // copy acc to vreg[194]
v_accvgpr_read_b32 v[vgprValuC+183], acc184 // copy acc to vreg[195]
v_accvgpr_read_b32 v[vgprValuC+188], acc200 // copy acc to vreg[196]
v_accvgpr_read_b32 v[vgprValuC+189], acc216 // copy acc to vreg[197]
v_accvgpr_read_b32 v[vgprValuC+190], acc232 // copy acc to vreg[198]
v_accvgpr_read_b32 v[vgprValuC+191], acc248 // copy acc to vreg[199]
v_accvgpr_read_b32 v[vgprValuC+196], acc137 // copy acc to vreg[200]
v_accvgpr_read_b32 v[vgprValuC+197], acc153 // copy acc to vreg[201]
v_accvgpr_read_b32 v[vgprValuC+198], acc169 // copy acc to vreg[202]
v_accvgpr_read_b32 v[vgprValuC+199], acc185 // copy acc to vreg[203]
v_accvgpr_read_b32 v[vgprValuC+204], acc201 // copy acc to vreg[204]
v_accvgpr_read_b32 v[vgprValuC+205], acc217 // copy acc to vreg[205]
v_accvgpr_read_b32 v[vgprValuC+206], acc233 // copy acc to vreg[206]
v_accvgpr_read_b32 v[vgprValuC+207], acc249 // copy acc to vreg[207]
v_accvgpr_read_b32 v[vgprValuC+212], acc138 // copy acc to vreg[208]
v_accvgpr_read_b32 v[vgprValuC+213], acc154 // copy acc to vreg[209]
v_accvgpr_read_b32 v[vgprValuC+214], acc170 // copy acc to vreg[210]
v_accvgpr_read_b32 v[vgprValuC+215], acc186 // copy acc to vreg[211]
v_accvgpr_read_b32 v[vgprValuC+220], acc202 // copy acc to vreg[212]
v_accvgpr_read_b32 v[vgprValuC+221], acc218 // copy acc to vreg[213]
v_accvgpr_read_b32 v[vgprValuC+222], acc234 // copy acc to vreg[214]
v_accvgpr_read_b32 v[vgprValuC+223], acc250 // copy acc to vreg[215]
v_accvgpr_read_b32 v[vgprValuC+228], acc139 // copy acc to vreg[216]
v_accvgpr_read_b32 v[vgprValuC+229], acc155 // copy acc to vreg[217]
v_accvgpr_read_b32 v[vgprValuC+230], acc171 // copy acc to vreg[218]
v_accvgpr_read_b32 v[vgprValuC+231], acc187 // copy acc to vreg[219]
v_accvgpr_read_b32 v[vgprValuC+236], acc203 // copy acc to vreg[220]
v_accvgpr_read_b32 v[vgprValuC+237], acc219 // copy acc to vreg[221]
v_accvgpr_read_b32 v[vgprValuC+238], acc235 // copy acc to vreg[222]
v_accvgpr_read_b32 v[vgprValuC+239], acc251 // copy acc to vreg[223]
s_nop 1                                            // 2 wait states required before reading vgpr

/* rC *= alpha batchElements=[(3, 0, 4, 0), (3, 0, 5, 0), (3, 0, 6, 0), (3, 0, 7, 0), (4, 0, 0, 0), (4, 0, 1, 0), (4, 0, 2, 0), (4, 0, 3, 0), (4, 0, 4, 0), (4, 0, 5, 0), (4, 0, 6, 0), (4, 0, 7, 0), (5, 0, 0, 0), (5, 0, 1, 0), (5, 0, 2, 0), (5, 0, 3, 0), (5, 0, 4, 0), (5, 0, 5, 0), (5, 0, 6, 0), (5, 0, 7, 0), (6, 0, 0, 0), (6, 0, 1, 0), (6, 0, 2, 0), (6, 0, 3, 0), (6, 0, 4, 0), (6, 0, 5, 0), (6, 0, 6, 0), (6, 0, 7, 0)] */
v_mul_f32 v[vgprValuC+12], s[sgprAlpha], v[vgprValuC+12] // *= alpha
v_mul_f32 v[vgprValuC+13], s[sgprAlpha], v[vgprValuC+13] // *= alpha
	;; [unrolled: 1-line block ×112, first 2 shown]

/* apply mask, calc new C and issue writes */

s_waitcnt vmcnt(27)                                // wait C (interleaved) 27 = 28 - 0 + 0 - 1
_v_mac_f32 v[vgprValuC+12], v8, s[sgprBeta]        // finalSum = sum*alpha + C*beta
_v_mac_f32 v[vgprValuC+13], v9, s[sgprBeta]        // finalSum = sum*alpha + C*beta
_v_mac_f32 v[vgprValuC+14], v10, s[sgprBeta]       // finalSum = sum*alpha + C*beta
_v_mac_f32 v[vgprValuC+15], v11, s[sgprBeta]       // finalSum = sum*alpha + C*beta
s_lshl_b32  s54, s[sgprStrideD1J], 2               // incToNextRow: Scale by BPE
s_add_u32  s[sgprSrdD+0], s[sgprSrdD+0], s54       // incToNextRow: gra SRD += inc(lower)
s_addc_u32  s[sgprSrdD+1], s[sgprSrdD+1], 0        // incToNextRow: gra SRD += inc(upper)
_buffer_store_b128 v[12:15], v6, s[sgprSrdD:sgprSrdD+3], 0, offen, offset:0 // store D

s_waitcnt vmcnt(27)                                // wait C (interleaved) 27 = 28 - 1 + 1 - 1
_v_mac_f32 v[vgprValuC+20], v16, s[sgprBeta]       // finalSum = sum*alpha + C*beta
_v_mac_f32 v[vgprValuC+21], v17, s[sgprBeta]       // finalSum = sum*alpha + C*beta
_v_mac_f32 v[vgprValuC+22], v18, s[sgprBeta]       // finalSum = sum*alpha + C*beta
_v_mac_f32 v[vgprValuC+23], v19, s[sgprBeta]       // finalSum = sum*alpha + C*beta
s_lshl_b32  s54, s[sgprStrideD1J], 2               // incToNextRow: Scale by BPE
s_add_u32  s[sgprSrdD+0], s[sgprSrdD+0], s54       // incToNextRow: gra SRD += inc(lower)
s_addc_u32  s[sgprSrdD+1], s[sgprSrdD+1], 0        // incToNextRow: gra SRD += inc(upper)
_buffer_store_b128 v[20:23], v6, s[sgprSrdD:sgprSrdD+3], 0, offen, offset:0 // store D

s_waitcnt vmcnt(27)                                // wait C (interleaved) 27 = 28 - 2 + 2 - 1
_v_mac_f32 v[vgprValuC+28], v24, s[sgprBeta]       // finalSum = sum*alpha + C*beta
_v_mac_f32 v[vgprValuC+29], v25, s[sgprBeta]       // finalSum = sum*alpha + C*beta
	;; [unrolled: 10-line block ×4, first 2 shown]
_v_mac_f32 v[vgprValuC+46], v42, s[sgprBeta]       // finalSum = sum*alpha + C*beta
_v_mac_f32 v[vgprValuC+47], v43, s[sgprBeta]       // finalSum = sum*alpha + C*beta
s_mul_i32 s54, s[sgprStrideD1J], 292               // scale StrideD *= numRows(73) * bpe
s_add_u32  s[sgprSrdD+0], s[sgprSrdD+0], s54       // incToNextRow: gra SRD += inc(lower)
s_addc_u32  s[sgprSrdD+1], s[sgprSrdD+1], 0        // incToNextRow: gra SRD += inc(upper)
_buffer_store_b128 v[44:47], v6, s[sgprSrdD:sgprSrdD+3], 0, offen, offset:0 // store D

s_waitcnt vmcnt(27)                                // wait C (interleaved) 27 = 28 - 5 + 5 - 1
_v_mac_f32 v[vgprValuC+60], v48, s[sgprBeta]       // finalSum = sum*alpha + C*beta
_v_mac_f32 v[vgprValuC+61], v49, s[sgprBeta]       // finalSum = sum*alpha + C*beta
_v_mac_f32 v[vgprValuC+62], v50, s[sgprBeta]       // finalSum = sum*alpha + C*beta
_v_mac_f32 v[vgprValuC+63], v51, s[sgprBeta]       // finalSum = sum*alpha + C*beta
s_lshl_b32  s54, s[sgprStrideD1J], 2               // incToNextRow: Scale by BPE
s_add_u32  s[sgprSrdD+0], s[sgprSrdD+0], s54       // incToNextRow: gra SRD += inc(lower)
s_addc_u32  s[sgprSrdD+1], s[sgprSrdD+1], 0        // incToNextRow: gra SRD += inc(upper)
_buffer_store_b128 v[60:63], v6, s[sgprSrdD:sgprSrdD+3], 0, offen, offset:0 // store D

s_waitcnt vmcnt(27)                                // wait C (interleaved) 27 = 28 - 6 + 6 - 1
_v_mac_f32 v[vgprValuC+68], v64, s[sgprBeta]       // finalSum = sum*alpha + C*beta
_v_mac_f32 v[vgprValuC+69], v65, s[sgprBeta]       // finalSum = sum*alpha + C*beta
_v_mac_f32 v[vgprValuC+70], v66, s[sgprBeta]       // finalSum = sum*alpha + C*beta
_v_mac_f32 v[vgprValuC+71], v67, s[sgprBeta]       // finalSum = sum*alpha + C*beta
s_lshl_b32  s54, s[sgprStrideD1J], 2               // incToNextRow: Scale by BPE
	;; [unrolled: 10-line block ×5, first 2 shown]
s_add_u32  s[sgprSrdD+0], s[sgprSrdD+0], s54       // incToNextRow: gra SRD += inc(lower)
s_addc_u32  s[sgprSrdD+1], s[sgprSrdD+1], 0        // incToNextRow: gra SRD += inc(upper)
_buffer_store_b128 v[92:95], v6, s[sgprSrdD:sgprSrdD+3], 0, offen, offset:0 // store D

s_waitcnt vmcnt(27)                                // wait C (interleaved) 27 = 28 - 10 + 10 - 1
_v_mac_f32 v[vgprValuC+100], v96, s[sgprBeta]      // finalSum = sum*alpha + C*beta
_v_mac_f32 v[vgprValuC+101], v97, s[sgprBeta]      // finalSum = sum*alpha + C*beta
_v_mac_f32 v[vgprValuC+102], v98, s[sgprBeta]      // finalSum = sum*alpha + C*beta
_v_mac_f32 v[vgprValuC+103], v99, s[sgprBeta]      // finalSum = sum*alpha + C*beta
s_lshl_b32  s54, s[sgprStrideD1J], 2               // incToNextRow: Scale by BPE
s_add_u32  s[sgprSrdD+0], s[sgprSrdD+0], s54       // incToNextRow: gra SRD += inc(lower)
s_addc_u32  s[sgprSrdD+1], s[sgprSrdD+1], 0        // incToNextRow: gra SRD += inc(upper)
_buffer_store_b128 v[100:103], v6, s[sgprSrdD:sgprSrdD+3], 0, offen, offset:0 // store D

s_waitcnt vmcnt(27)                                // wait C (interleaved) 27 = 28 - 11 + 11 - 1
_v_mac_f32 v[vgprValuC+108], v104, s[sgprBeta]     // finalSum = sum*alpha + C*beta
_v_mac_f32 v[vgprValuC+109], v105, s[sgprBeta]     // finalSum = sum*alpha + C*beta
	;; [unrolled: 1-line block ×4, first 2 shown]
s_lshl_b32  s54, s[sgprStrideD1J], 2               // incToNextRow: Scale by BPE
s_add_u32  s[sgprSrdD+0], s[sgprSrdD+0], s54       // incToNextRow: gra SRD += inc(lower)
s_addc_u32  s[sgprSrdD+1], s[sgprSrdD+1], 0        // incToNextRow: gra SRD += inc(upper)
_buffer_store_b128 v[108:111], v6, s[sgprSrdD:sgprSrdD+3], 0, offen, offset:0 // store D

s_waitcnt vmcnt(27)                                // wait C (interleaved) 27 = 28 - 12 + 12 - 1
_v_mac_f32 v[vgprValuC+116], v112, s[sgprBeta]     // finalSum = sum*alpha + C*beta
_v_mac_f32 v[vgprValuC+117], v113, s[sgprBeta]     // finalSum = sum*alpha + C*beta
	;; [unrolled: 1-line block ×4, first 2 shown]
s_mul_i32 s54, s[sgprStrideD1J], 36                // scale StrideD *= numRows(9) * bpe
s_add_u32  s[sgprSrdD+0], s[sgprSrdD+0], s54       // incToNextRow: gra SRD += inc(lower)
s_addc_u32  s[sgprSrdD+1], s[sgprSrdD+1], 0        // incToNextRow: gra SRD += inc(upper)
_buffer_store_b128 v[116:119], v6, s[sgprSrdD:sgprSrdD+3], 0, offen, offset:0 // store D

s_waitcnt vmcnt(27)                                // wait C (interleaved) 27 = 28 - 13 + 13 - 1
_v_mac_f32 v[vgprValuC+124], v120, s[sgprBeta]     // finalSum = sum*alpha + C*beta
_v_mac_f32 v[vgprValuC+125], v121, s[sgprBeta]     // finalSum = sum*alpha + C*beta
_v_mac_f32 v[vgprValuC+126], v122, s[sgprBeta]     // finalSum = sum*alpha + C*beta
_v_mac_f32 v[vgprValuC+127], v123, s[sgprBeta]     // finalSum = sum*alpha + C*beta
s_lshl_b32  s54, s[sgprStrideD1J], 2               // incToNextRow: Scale by BPE
s_add_u32  s[sgprSrdD+0], s[sgprSrdD+0], s54       // incToNextRow: gra SRD += inc(lower)
s_addc_u32  s[sgprSrdD+1], s[sgprSrdD+1], 0        // incToNextRow: gra SRD += inc(upper)
_buffer_store_b128 v[124:127], v6, s[sgprSrdD:sgprSrdD+3], 0, offen, offset:0 // store D

s_waitcnt vmcnt(27)                                // wait C (interleaved) 27 = 28 - 14 + 14 - 1
_v_mac_f32 v[vgprValuC+132], v128, s[sgprBeta]     // finalSum = sum*alpha + C*beta
_v_mac_f32 v[vgprValuC+133], v129, s[sgprBeta]     // finalSum = sum*alpha + C*beta
_v_mac_f32 v[vgprValuC+134], v130, s[sgprBeta]     // finalSum = sum*alpha + C*beta
_v_mac_f32 v[vgprValuC+135], v131, s[sgprBeta]     // finalSum = sum*alpha + C*beta
s_lshl_b32  s54, s[sgprStrideD1J], 2               // incToNextRow: Scale by BPE
	;; [unrolled: 10-line block ×7, first 2 shown]
s_add_u32  s[sgprSrdD+0], s[sgprSrdD+0], s54       // incToNextRow: gra SRD += inc(lower)
s_addc_u32  s[sgprSrdD+1], s[sgprSrdD+1], 0        // incToNextRow: gra SRD += inc(upper)
_buffer_store_b128 v[172:175], v6, s[sgprSrdD:sgprSrdD+3], 0, offen, offset:0 // store D

s_waitcnt vmcnt(27)                                // wait C (interleaved) 27 = 28 - 20 + 20 - 1
_v_mac_f32 v[vgprValuC+180], v176, s[sgprBeta]     // finalSum = sum*alpha + C*beta
_v_mac_f32 v[vgprValuC+181], v177, s[sgprBeta]     // finalSum = sum*alpha + C*beta
	;; [unrolled: 1-line block ×4, first 2 shown]
s_mul_i32 s54, s[sgprStrideD1J], 36                // scale StrideD *= numRows(9) * bpe
s_add_u32  s[sgprSrdD+0], s[sgprSrdD+0], s54       // incToNextRow: gra SRD += inc(lower)
s_addc_u32  s[sgprSrdD+1], s[sgprSrdD+1], 0        // incToNextRow: gra SRD += inc(upper)
_buffer_store_b128 v[180:183], v6, s[sgprSrdD:sgprSrdD+3], 0, offen, offset:0 // store D

s_waitcnt vmcnt(27)                                // wait C (interleaved) 27 = 28 - 21 + 21 - 1
_v_mac_f32 v[vgprValuC+188], v184, s[sgprBeta]     // finalSum = sum*alpha + C*beta
_v_mac_f32 v[vgprValuC+189], v185, s[sgprBeta]     // finalSum = sum*alpha + C*beta
_v_mac_f32 v[vgprValuC+190], v186, s[sgprBeta]     // finalSum = sum*alpha + C*beta
_v_mac_f32 v[vgprValuC+191], v187, s[sgprBeta]     // finalSum = sum*alpha + C*beta
s_lshl_b32  s54, s[sgprStrideD1J], 2               // incToNextRow: Scale by BPE
s_add_u32  s[sgprSrdD+0], s[sgprSrdD+0], s54       // incToNextRow: gra SRD += inc(lower)
s_addc_u32  s[sgprSrdD+1], s[sgprSrdD+1], 0        // incToNextRow: gra SRD += inc(upper)
_buffer_store_b128 v[188:191], v6, s[sgprSrdD:sgprSrdD+3], 0, offen, offset:0 // store D

s_waitcnt vmcnt(27)                                // wait C (interleaved) 27 = 28 - 22 + 22 - 1
_v_mac_f32 v[vgprValuC+196], v192, s[sgprBeta]     // finalSum = sum*alpha + C*beta
_v_mac_f32 v[vgprValuC+197], v193, s[sgprBeta]     // finalSum = sum*alpha + C*beta
_v_mac_f32 v[vgprValuC+198], v194, s[sgprBeta]     // finalSum = sum*alpha + C*beta
_v_mac_f32 v[vgprValuC+199], v195, s[sgprBeta]     // finalSum = sum*alpha + C*beta
s_lshl_b32  s54, s[sgprStrideD1J], 2               // incToNextRow: Scale by BPE
	;; [unrolled: 10-line block ×7, first 2 shown]
s_add_u32  s[sgprSrdD+0], s[sgprSrdD+0], s54       // incToNextRow: gra SRD += inc(lower)
s_addc_u32  s[sgprSrdD+1], s[sgprSrdD+1], 0        // incToNextRow: gra SRD += inc(upper)
_buffer_store_b128 v[236:239], v6, s[sgprSrdD:sgprSrdD+3], 0, offen, offset:0 // store D
s_nop 0                                            // 1 wait state required when next inst writes vgprs held by previous dwordx4 store inst
/* optSingleColVgpr=1 optSharedColVgpr=0 optSGPRUsage=BufferLoad_Mask optSrdIncForRow=1 */

/******************************************/
/* Global Write Alpha Beta Batch #2 (d1,d0,vc1,vc0) = */
/*    (7,0,0,0:vw4); (7,0,1,0:vw4); (7,0,2,0:vw4); (7,0,3,0:vw4); (7,0,4,0:vw4); (7,0,5,0:vw4); (7,0,6,0:vw4); (7,0,7,0:vw4) */
/******************************************/

/* calc coords, apply mask, and issue loads (if necessary) */
/* (d1,vc1,d0,vc0)=(7,0,0,0) */
s_mul_i32 s54, s[sgprStrideC1J], 36                // scale StrideC *= numRows(9) * bpe
s_add_u32  s[sgprSrdC+0], s[sgprSrdC+0], s54       // incToNextRow: gra SRD += inc(lower)
s_addc_u32  s[sgprSrdC+1], s[sgprSrdC+1], 0        // incToNextRow: gra SRD += inc(upper)
_buffer_load_b128 v[8:11], v7, s[sgprSrdC:sgprSrdC+3], 0, offen offset:0 // load C for beta calc
/* (d1,vc1,d0,vc0)=(7,1,0,0) */
s_lshl_b32  s54, s[sgprStrideC1J], 2               // incToNextRow: Scale by BPE
s_add_u32  s[sgprSrdC+0], s[sgprSrdC+0], s54       // incToNextRow: gra SRD += inc(lower)
s_addc_u32  s[sgprSrdC+1], s[sgprSrdC+1], 0        // incToNextRow: gra SRD += inc(upper)
_buffer_load_b128 v[16:19], v7, s[sgprSrdC:sgprSrdC+3], 0, offen offset:0 // load C for beta calc
/* (d1,vc1,d0,vc0)=(7,2,0,0) */
s_lshl_b32  s54, s[sgprStrideC1J], 2               // incToNextRow: Scale by BPE
	;; [unrolled: 5-line block ×7, first 2 shown]
s_add_u32  s[sgprSrdC+0], s[sgprSrdC+0], s54       // incToNextRow: gra SRD += inc(lower)
s_addc_u32  s[sgprSrdC+1], s[sgprSrdC+1], 0        // incToNextRow: gra SRD += inc(upper)
_buffer_load_b128 v[72:75], v7, s[sgprSrdC:sgprSrdC+3], 0, offen offset:0 // load C for beta calc
v_accvgpr_read_b32 v[vgprValuC+12], acc140 // copy acc to vreg[224]
v_accvgpr_read_b32 v[vgprValuC+13], acc156 // copy acc to vreg[225]
v_accvgpr_read_b32 v[vgprValuC+14], acc172 // copy acc to vreg[226]
v_accvgpr_read_b32 v[vgprValuC+15], acc188 // copy acc to vreg[227]
v_accvgpr_read_b32 v[vgprValuC+20], acc204 // copy acc to vreg[228]
v_accvgpr_read_b32 v[vgprValuC+21], acc220 // copy acc to vreg[229]
v_accvgpr_read_b32 v[vgprValuC+22], acc236 // copy acc to vreg[230]
v_accvgpr_read_b32 v[vgprValuC+23], acc252 // copy acc to vreg[231]
v_accvgpr_read_b32 v[vgprValuC+28], acc141 // copy acc to vreg[232]
v_accvgpr_read_b32 v[vgprValuC+29], acc157 // copy acc to vreg[233]
v_accvgpr_read_b32 v[vgprValuC+30], acc173 // copy acc to vreg[234]
v_accvgpr_read_b32 v[vgprValuC+31], acc189 // copy acc to vreg[235]
v_accvgpr_read_b32 v[vgprValuC+36], acc205 // copy acc to vreg[236]
v_accvgpr_read_b32 v[vgprValuC+37], acc221 // copy acc to vreg[237]
v_accvgpr_read_b32 v[vgprValuC+38], acc237 // copy acc to vreg[238]
v_accvgpr_read_b32 v[vgprValuC+39], acc253 // copy acc to vreg[239]
v_accvgpr_read_b32 v[vgprValuC+44], acc142 // copy acc to vreg[240]
v_accvgpr_read_b32 v[vgprValuC+45], acc158 // copy acc to vreg[241]
v_accvgpr_read_b32 v[vgprValuC+46], acc174 // copy acc to vreg[242]
v_accvgpr_read_b32 v[vgprValuC+47], acc190 // copy acc to vreg[243]
v_accvgpr_read_b32 v[vgprValuC+60], acc206 // copy acc to vreg[244]
v_accvgpr_read_b32 v[vgprValuC+61], acc222 // copy acc to vreg[245]
v_accvgpr_read_b32 v[vgprValuC+62], acc238 // copy acc to vreg[246]
v_accvgpr_read_b32 v[vgprValuC+63], acc254 // copy acc to vreg[247]
v_accvgpr_read_b32 v[vgprValuC+68], acc143 // copy acc to vreg[248]
v_accvgpr_read_b32 v[vgprValuC+69], acc159 // copy acc to vreg[249]
v_accvgpr_read_b32 v[vgprValuC+70], acc175 // copy acc to vreg[250]
v_accvgpr_read_b32 v[vgprValuC+71], acc191 // copy acc to vreg[251]
v_accvgpr_read_b32 v[vgprValuC+76], acc207 // copy acc to vreg[252]
v_accvgpr_read_b32 v[vgprValuC+77], acc223 // copy acc to vreg[253]
v_accvgpr_read_b32 v[vgprValuC+78], acc239 // copy acc to vreg[254]
v_accvgpr_read_b32 v[vgprValuC+79], acc255 // copy acc to vreg[255]
s_nop 1                                            // 2 wait states required before reading vgpr

/* rC *= alpha batchElements=[(7, 0, 0, 0), (7, 0, 1, 0), (7, 0, 2, 0), (7, 0, 3, 0), (7, 0, 4, 0), (7, 0, 5, 0), (7, 0, 6, 0), (7, 0, 7, 0)] */
v_mul_f32 v[vgprValuC+12], s[sgprAlpha], v[vgprValuC+12] // *= alpha
v_mul_f32 v[vgprValuC+13], s[sgprAlpha], v[vgprValuC+13] // *= alpha
	;; [unrolled: 1-line block ×32, first 2 shown]

/* apply mask, calc new C and issue writes */

s_waitcnt vmcnt(7)                                 // wait C (interleaved) 7 = 8 - 0 + 0 - 1
_v_mac_f32 v[vgprValuC+12], v8, s[sgprBeta]        // finalSum = sum*alpha + C*beta
_v_mac_f32 v[vgprValuC+13], v9, s[sgprBeta]        // finalSum = sum*alpha + C*beta
_v_mac_f32 v[vgprValuC+14], v10, s[sgprBeta]       // finalSum = sum*alpha + C*beta
_v_mac_f32 v[vgprValuC+15], v11, s[sgprBeta]       // finalSum = sum*alpha + C*beta
s_mul_i32 s54, s[sgprStrideD1J], 36                // scale StrideD *= numRows(9) * bpe
s_add_u32  s[sgprSrdD+0], s[sgprSrdD+0], s54       // incToNextRow: gra SRD += inc(lower)
s_addc_u32  s[sgprSrdD+1], s[sgprSrdD+1], 0        // incToNextRow: gra SRD += inc(upper)
_buffer_store_b128 v[12:15], v6, s[sgprSrdD:sgprSrdD+3], 0, offen, offset:0 // store D

s_waitcnt vmcnt(7)                                 // wait C (interleaved) 7 = 8 - 1 + 1 - 1
_v_mac_f32 v[vgprValuC+20], v16, s[sgprBeta]       // finalSum = sum*alpha + C*beta
_v_mac_f32 v[vgprValuC+21], v17, s[sgprBeta]       // finalSum = sum*alpha + C*beta
_v_mac_f32 v[vgprValuC+22], v18, s[sgprBeta]       // finalSum = sum*alpha + C*beta
_v_mac_f32 v[vgprValuC+23], v19, s[sgprBeta]       // finalSum = sum*alpha + C*beta
s_lshl_b32  s54, s[sgprStrideD1J], 2               // incToNextRow: Scale by BPE
s_add_u32  s[sgprSrdD+0], s[sgprSrdD+0], s54       // incToNextRow: gra SRD += inc(lower)
s_addc_u32  s[sgprSrdD+1], s[sgprSrdD+1], 0        // incToNextRow: gra SRD += inc(upper)
_buffer_store_b128 v[20:23], v6, s[sgprSrdD:sgprSrdD+3], 0, offen, offset:0 // store D

s_waitcnt vmcnt(7)                                 // wait C (interleaved) 7 = 8 - 2 + 2 - 1
_v_mac_f32 v[vgprValuC+28], v24, s[sgprBeta]       // finalSum = sum*alpha + C*beta
_v_mac_f32 v[vgprValuC+29], v25, s[sgprBeta]       // finalSum = sum*alpha + C*beta
_v_mac_f32 v[vgprValuC+30], v26, s[sgprBeta]       // finalSum = sum*alpha + C*beta
_v_mac_f32 v[vgprValuC+31], v27, s[sgprBeta]       // finalSum = sum*alpha + C*beta
s_lshl_b32  s54, s[sgprStrideD1J], 2               // incToNextRow: Scale by BPE
	;; [unrolled: 10-line block ×7, first 2 shown]
s_add_u32  s[sgprSrdD+0], s[sgprSrdD+0], s54       // incToNextRow: gra SRD += inc(lower)
s_addc_u32  s[sgprSrdD+1], s[sgprSrdD+1], 0        // incToNextRow: gra SRD += inc(upper)
_buffer_store_b128 v[76:79], v6, s[sgprSrdD:sgprSrdD+3], 0, offen, offset:0 // store D
s_nop 0                                            // 1 wait state required when next inst writes vgprs held by previous dwordx4 store inst
s_branch label_GW_End_178                          // jump to end
GW_B1_E1_177:

/* edge=1, allocate 6 sgpr. perBatchTmpS=4 perBatchMaskS=2 perElementMaskS=0 elementsPerBatch=26 */
/* optSingleColVgpr=0 optSharedColVgpr=0 optSGPRUsage=BufferLoad_Edge_Mask optSrdIncForRow=0 */

/******************************************/
/* Global Write Alpha Beta Edge Batch #0 (d1,d0,vc1,vc0) = */
/*    (0,0,0,0:vw4); (0,0,1,0:vw4); (0,0,2,0:vw4); (0,0,3,0:vw4); (0,0,4,0:vw4); (0,0,5,0:vw4); (0,0,6,0:vw4); (0,0,7,0:vw4); (1,0,0,0:vw4); (1,0,1,0:vw4); (1,0,2,0:vw4); (1,0,3,0:vw4); (1,0,4,0:vw4); (1,0,5,0:vw4); (1,0,6,0:vw4); (1,0,7,0:vw4); (2,0,0,0:vw4); (2,0,1,0:vw4); (2,0,2,0:vw4); (2,0,3,0:vw4); (2,0,4,0:vw4); (2,0,5,0:vw4); (2,0,6,0:vw4); (2,0,7,0:vw4); (3,0,0,0:vw4); (3,0,1,0:vw4) */
/******************************************/

/* calc coords, apply mask, and issue loads (if necessary) */
/* (d1,vc1,d0,vc0)=(0,0,0,0) */
v_cmp_lt_u32 s[54:55], v0, s[sgprSizeI]            // coord0 < size0
v_cmp_lt_u32 s[58:59], v1, s[sgprSizeJ]            // coord1 < size1
s_and_b64 s[58:59], s[54:55], s[58:59]             // in0 && in1
_v_add_lshl_u32 v6, v2, v0, 0x2                    // scaleToBpe: accumulate d0 lower and *= bpe into Cin addr
v_cndmask_b32 v6, -1, v6, s[58:59]                 // LDC clip if OOB. offset
_buffer_load_b128 v[8:11], v6, s[sgprSrdC:sgprSrdC+3], 0, offen offset:0 // load C for beta calc
_v_add_lshl_u32 v6, v3, v0, 0x2                    // scaleToBpe: accumulate d0 lower and *= bpe into Cin addr
v_cndmask_b32 v6, -1, v6, s[58:59]                 // LDD clip if OOB. offset
/* (d1,vc1,d0,vc0)=(0,1,0,0) */
_v_add_co_u32 v1, vcc, v1, 1                       // coord1.1: coord1Vgpr += d1*sg1*VW + vc1

/* Fix for UseInitialStridesCD, emitAddressSetupCode */
_v_add_u32 v2, v2, s[sgprStrideC1J]                // ROWINC- Move cinRowPtr to next row
_v_add_u32 v3, v3, s[sgprStrideD1J]                // Move coutRowPtr to next row
v_cmp_lt_u32 s[54:55], v0, s[sgprSizeI]            // coord0 < size0
v_cmp_lt_u32 s[58:59], v1, s[sgprSizeJ]            // coord1 < size1
s_and_b64 s[58:59], s[54:55], s[58:59]             // in0 && in1
_v_add_lshl_u32 v7, v2, v0, 0x2                    // scaleToBpe: accumulate d0 lower and *= bpe into Cin addr
v_cndmask_b32 v7, -1, v7, s[58:59]                 // LDC clip if OOB. offset
_buffer_load_b128 v[16:19], v7, s[sgprSrdC:sgprSrdC+3], 0, offen offset:0 // load C for beta calc
_v_add_lshl_u32 v7, v3, v0, 0x2                    // scaleToBpe: accumulate d0 lower and *= bpe into Cin addr
v_cndmask_b32 v7, -1, v7, s[58:59]                 // LDD clip if OOB. offset
/* (d1,vc1,d0,vc0)=(0,2,0,0) */
_v_add_co_u32 v1, vcc, v1, 1                       // coord1.1: coord1Vgpr += d1*sg1*VW + vc1

/* Fix for UseInitialStridesCD, emitAddressSetupCode */
_v_add_u32 v2, v2, s[sgprStrideC1J]                // ROWINC- Move cinRowPtr to next row
_v_add_u32 v3, v3, s[sgprStrideD1J]                // Move coutRowPtr to next row
v_cmp_lt_u32 s[54:55], v0, s[sgprSizeI]            // coord0 < size0
v_cmp_lt_u32 s[58:59], v1, s[sgprSizeJ]            // coord1 < size1
s_and_b64 s[58:59], s[54:55], s[58:59]             // in0 && in1
_v_add_lshl_u32 v24, v2, v0, 0x2                   // scaleToBpe: accumulate d0 lower and *= bpe into Cin addr
v_cndmask_b32 v24, -1, v24, s[58:59]               // LDC clip if OOB. offset
_buffer_load_b128 v[28:31], v24, s[sgprSrdC:sgprSrdC+3], 0, offen offset:0 // load C for beta calc
_v_add_lshl_u32 v24, v3, v0, 0x2                   // scaleToBpe: accumulate d0 lower and *= bpe into Cin addr
v_cndmask_b32 v24, -1, v24, s[58:59]               // LDD clip if OOB. offset
/* (d1,vc1,d0,vc0)=(0,3,0,0) */
_v_add_co_u32 v1, vcc, v1, 1                       // coord1.1: coord1Vgpr += d1*sg1*VW + vc1

/* Fix for UseInitialStridesCD, emitAddressSetupCode */
_v_add_u32 v2, v2, s[sgprStrideC1J]                // ROWINC- Move cinRowPtr to next row
_v_add_u32 v3, v3, s[sgprStrideD1J]                // Move coutRowPtr to next row
v_cmp_lt_u32 s[54:55], v0, s[sgprSizeI]            // coord0 < size0
v_cmp_lt_u32 s[58:59], v1, s[sgprSizeJ]            // coord1 < size1
s_and_b64 s[58:59], s[54:55], s[58:59]             // in0 && in1
_v_add_lshl_u32 v25, v2, v0, 0x2                   // scaleToBpe: accumulate d0 lower and *= bpe into Cin addr
v_cndmask_b32 v25, -1, v25, s[58:59]               // LDC clip if OOB. offset
_buffer_load_b128 v[36:39], v25, s[sgprSrdC:sgprSrdC+3], 0, offen offset:0 // load C for beta calc
_v_add_lshl_u32 v25, v3, v0, 0x2                   // scaleToBpe: accumulate d0 lower and *= bpe into Cin addr
v_cndmask_b32 v25, -1, v25, s[58:59]               // LDD clip if OOB. offset
	;; [unrolled: 14-line block ×6, first 2 shown]
/* (d1,vc1,d0,vc0)=(1,0,0,0) */
_v_add_co_u32 v1, vcc, v1, 9                       // coord1.1: coord1Vgpr += d1*sg1*VW + vc1

/* Fix for UseInitialStridesCD, emitAddressSetupCode */
s_mul_i32 s54, s[sgprStrideC1J], 9                 // scale stride
_v_add_u32 v2, v2, s54                             // ROWINC- Move cinRowPtr to next row
s_mul_i32 s54, s[sgprStrideD1J], 9                 // scale stride
_v_add_u32 v3, v3, s54                             // Move coutRowPtr to next row
v_cmp_lt_u32 s[54:55], v0, s[sgprSizeI]            // coord0 < size0
v_cmp_lt_u32 s[58:59], v1, s[sgprSizeJ]            // coord1 < size1
s_and_b64 s[58:59], s[54:55], s[58:59]             // in0 && in1
_v_add_lshl_u32 v57, v2, v0, 0x2                   // scaleToBpe: accumulate d0 lower and *= bpe into Cin addr
v_cndmask_b32 v57, -1, v57, s[58:59]               // LDC clip if OOB. offset
_buffer_load_b128 v[84:87], v57, s[sgprSrdC:sgprSrdC+3], 0, offen offset:0 // load C for beta calc
_v_add_lshl_u32 v57, v3, v0, 0x2                   // scaleToBpe: accumulate d0 lower and *= bpe into Cin addr
v_cndmask_b32 v57, -1, v57, s[58:59]               // LDD clip if OOB. offset
/* (d1,vc1,d0,vc0)=(1,1,0,0) */
_v_add_co_u32 v1, vcc, v1, 1                       // coord1.1: coord1Vgpr += d1*sg1*VW + vc1

/* Fix for UseInitialStridesCD, emitAddressSetupCode */
_v_add_u32 v2, v2, s[sgprStrideC1J]                // ROWINC- Move cinRowPtr to next row
_v_add_u32 v3, v3, s[sgprStrideD1J]                // Move coutRowPtr to next row
v_cmp_lt_u32 s[54:55], v0, s[sgprSizeI]            // coord0 < size0
v_cmp_lt_u32 s[58:59], v1, s[sgprSizeJ]            // coord1 < size1
s_and_b64 s[58:59], s[54:55], s[58:59]             // in0 && in1
_v_add_lshl_u32 v58, v2, v0, 0x2                   // scaleToBpe: accumulate d0 lower and *= bpe into Cin addr
v_cndmask_b32 v58, -1, v58, s[58:59]               // LDC clip if OOB. offset
_buffer_load_b128 v[92:95], v58, s[sgprSrdC:sgprSrdC+3], 0, offen offset:0 // load C for beta calc
_v_add_lshl_u32 v58, v3, v0, 0x2                   // scaleToBpe: accumulate d0 lower and *= bpe into Cin addr
v_cndmask_b32 v58, -1, v58, s[58:59]               // LDD clip if OOB. offset
/* (d1,vc1,d0,vc0)=(1,2,0,0) */
_v_add_co_u32 v1, vcc, v1, 1                       // coord1.1: coord1Vgpr += d1*sg1*VW + vc1

/* Fix for UseInitialStridesCD, emitAddressSetupCode */
_v_add_u32 v2, v2, s[sgprStrideC1J]                // ROWINC- Move cinRowPtr to next row
_v_add_u32 v3, v3, s[sgprStrideD1J]                // Move coutRowPtr to next row
	;; [unrolled: 14-line block ×3, first 2 shown]
v_cmp_lt_u32 s[54:55], v0, s[sgprSizeI]            // coord0 < size0
v_cmp_lt_u32 s[58:59], v1, s[sgprSizeJ]            // coord1 < size1
s_and_b64 s[58:59], s[54:55], s[58:59]             // in0 && in1
_v_add_lshl_u32 v108, v2, v0, 0x2                  // scaleToBpe: accumulate d0 lower and *= bpe into Cin addr
v_cndmask_b32 v108, -1, v108, s[58:59]             // LDC clip if OOB. offset
_buffer_load_b128 v[112:115], v108, s[sgprSrdC:sgprSrdC+3], 0, offen offset:0 // load C for beta calc
_v_add_lshl_u32 v108, v3, v0, 0x2                  // scaleToBpe: accumulate d0 lower and *= bpe into Cin addr
v_cndmask_b32 v108, -1, v108, s[58:59]             // LDD clip if OOB. offset
/* (d1,vc1,d0,vc0)=(1,4,0,0) */
_v_add_co_u32 v1, vcc, v1, 1                       // coord1.1: coord1Vgpr += d1*sg1*VW + vc1

/* Fix for UseInitialStridesCD, emitAddressSetupCode */
_v_add_u32 v2, v2, s[sgprStrideC1J]                // ROWINC- Move cinRowPtr to next row
_v_add_u32 v3, v3, s[sgprStrideD1J]                // Move coutRowPtr to next row
v_cmp_lt_u32 s[54:55], v0, s[sgprSizeI]            // coord0 < size0
v_cmp_lt_u32 s[58:59], v1, s[sgprSizeJ]            // coord1 < size1
s_and_b64 s[58:59], s[54:55], s[58:59]             // in0 && in1
_v_add_lshl_u32 v109, v2, v0, 0x2                  // scaleToBpe: accumulate d0 lower and *= bpe into Cin addr
v_cndmask_b32 v109, -1, v109, s[58:59]             // LDC clip if OOB. offset
_buffer_load_b128 v[120:123], v109, s[sgprSrdC:sgprSrdC+3], 0, offen offset:0 // load C for beta calc
_v_add_lshl_u32 v109, v3, v0, 0x2                  // scaleToBpe: accumulate d0 lower and *= bpe into Cin addr
v_cndmask_b32 v109, -1, v109, s[58:59]             // LDD clip if OOB. offset
/* (d1,vc1,d0,vc0)=(1,5,0,0) */
_v_add_co_u32 v1, vcc, v1, 1                       // coord1.1: coord1Vgpr += d1*sg1*VW + vc1

/* Fix for UseInitialStridesCD, emitAddressSetupCode */
_v_add_u32 v2, v2, s[sgprStrideC1J]                // ROWINC- Move cinRowPtr to next row
_v_add_u32 v3, v3, s[sgprStrideD1J]                // Move coutRowPtr to next row
v_cmp_lt_u32 s[54:55], v0, s[sgprSizeI]            // coord0 < size0
v_cmp_lt_u32 s[58:59], v1, s[sgprSizeJ]            // coord1 < size1
s_and_b64 s[58:59], s[54:55], s[58:59]             // in0 && in1
_v_add_lshl_u32 v110, v2, v0, 0x2                  // scaleToBpe: accumulate d0 lower and *= bpe into Cin addr
v_cndmask_b32 v110, -1, v110, s[58:59]             // LDC clip if OOB. offset
_buffer_load_b128 v[128:131], v110, s[sgprSrdC:sgprSrdC+3], 0, offen offset:0 // load C for beta calc
_v_add_lshl_u32 v110, v3, v0, 0x2                  // scaleToBpe: accumulate d0 lower and *= bpe into Cin addr
v_cndmask_b32 v110, -1, v110, s[58:59]             // LDD clip if OOB. offset
/* (d1,vc1,d0,vc0)=(1,6,0,0) */
_v_add_co_u32 v1, vcc, v1, 1                       // coord1.1: coord1Vgpr += d1*sg1*VW + vc1

/* Fix for UseInitialStridesCD, emitAddressSetupCode */
_v_add_u32 v2, v2, s[sgprStrideC1J]                // ROWINC- Move cinRowPtr to next row
_v_add_u32 v3, v3, s[sgprStrideD1J]                // Move coutRowPtr to next row
v_cmp_lt_u32 s[54:55], v0, s[sgprSizeI]            // coord0 < size0
v_cmp_lt_u32 s[58:59], v1, s[sgprSizeJ]            // coord1 < size1
s_and_b64 s[58:59], s[54:55], s[58:59]             // in0 && in1
_v_add_lshl_u32 v111, v2, v0, 0x2                  // scaleToBpe: accumulate d0 lower and *= bpe into Cin addr
v_cndmask_b32 v111, -1, v111, s[58:59]             // LDC clip if OOB. offset
_buffer_load_b128 v[136:139], v111, s[sgprSrdC:sgprSrdC+3], 0, offen offset:0 // load C for beta calc
_v_add_lshl_u32 v111, v3, v0, 0x2                  // scaleToBpe: accumulate d0 lower and *= bpe into Cin addr
v_cndmask_b32 v111, -1, v111, s[58:59]             // LDD clip if OOB. offset
/* (d1,vc1,d0,vc0)=(1,7,0,0) */
_v_add_co_u32 v1, vcc, v1, 1                       // coord1.1: coord1Vgpr += d1*sg1*VW + vc1

/* Fix for UseInitialStridesCD, emitAddressSetupCode */
_v_add_u32 v2, v2, s[sgprStrideC1J]                // ROWINC- Move cinRowPtr to next row
_v_add_u32 v3, v3, s[sgprStrideD1J]                // Move coutRowPtr to next row
v_cmp_lt_u32 s[54:55], v0, s[sgprSizeI]            // coord0 < size0
v_cmp_lt_u32 s[58:59], v1, s[sgprSizeJ]            // coord1 < size1
s_and_b64 s[58:59], s[54:55], s[58:59]             // in0 && in1
_v_add_lshl_u32 v144, v2, v0, 0x2                  // scaleToBpe: accumulate d0 lower and *= bpe into Cin addr
v_cndmask_b32 v144, -1, v144, s[58:59]             // LDC clip if OOB. offset
_buffer_load_b128 v[148:151], v144, s[sgprSrdC:sgprSrdC+3], 0, offen offset:0 // load C for beta calc
_v_add_lshl_u32 v144, v3, v0, 0x2                  // scaleToBpe: accumulate d0 lower and *= bpe into Cin addr
v_cndmask_b32 v144, -1, v144, s[58:59]             // LDD clip if OOB. offset
/* (d1,vc1,d0,vc0)=(2,0,0,0) */
_v_add_co_u32 v1, vcc, v1, 9                       // coord1.1: coord1Vgpr += d1*sg1*VW + vc1

/* Fix for UseInitialStridesCD, emitAddressSetupCode */
s_mul_i32 s54, s[sgprStrideC1J], 9                 // scale stride
_v_add_u32 v2, v2, s54                             // ROWINC- Move cinRowPtr to next row
s_mul_i32 s54, s[sgprStrideD1J], 9                 // scale stride
_v_add_u32 v3, v3, s54                             // Move coutRowPtr to next row
v_cmp_lt_u32 s[54:55], v0, s[sgprSizeI]            // coord0 < size0
v_cmp_lt_u32 s[58:59], v1, s[sgprSizeJ]            // coord1 < size1
s_and_b64 s[58:59], s[54:55], s[58:59]             // in0 && in1
_v_add_lshl_u32 v145, v2, v0, 0x2                  // scaleToBpe: accumulate d0 lower and *= bpe into Cin addr
v_cndmask_b32 v145, -1, v145, s[58:59]             // LDC clip if OOB. offset
_buffer_load_b128 v[156:159], v145, s[sgprSrdC:sgprSrdC+3], 0, offen offset:0 // load C for beta calc
_v_add_lshl_u32 v145, v3, v0, 0x2                  // scaleToBpe: accumulate d0 lower and *= bpe into Cin addr
v_cndmask_b32 v145, -1, v145, s[58:59]             // LDD clip if OOB. offset
/* (d1,vc1,d0,vc0)=(2,1,0,0) */
_v_add_co_u32 v1, vcc, v1, 1                       // coord1.1: coord1Vgpr += d1*sg1*VW + vc1

/* Fix for UseInitialStridesCD, emitAddressSetupCode */
_v_add_u32 v2, v2, s[sgprStrideC1J]                // ROWINC- Move cinRowPtr to next row
_v_add_u32 v3, v3, s[sgprStrideD1J]                // Move coutRowPtr to next row
v_cmp_lt_u32 s[54:55], v0, s[sgprSizeI]            // coord0 < size0
v_cmp_lt_u32 s[58:59], v1, s[sgprSizeJ]            // coord1 < size1
s_and_b64 s[58:59], s[54:55], s[58:59]             // in0 && in1
_v_add_lshl_u32 v146, v2, v0, 0x2                  // scaleToBpe: accumulate d0 lower and *= bpe into Cin addr
v_cndmask_b32 v146, -1, v146, s[58:59]             // LDC clip if OOB. offset
_buffer_load_b128 v[164:167], v146, s[sgprSrdC:sgprSrdC+3], 0, offen offset:0 // load C for beta calc
_v_add_lshl_u32 v146, v3, v0, 0x2                  // scaleToBpe: accumulate d0 lower and *= bpe into Cin addr
v_cndmask_b32 v146, -1, v146, s[58:59]             // LDD clip if OOB. offset
/* (d1,vc1,d0,vc0)=(2,2,0,0) */
_v_add_co_u32 v1, vcc, v1, 1                       // coord1.1: coord1Vgpr += d1*sg1*VW + vc1

/* Fix for UseInitialStridesCD, emitAddressSetupCode */
_v_add_u32 v2, v2, s[sgprStrideC1J]                // ROWINC- Move cinRowPtr to next row
_v_add_u32 v3, v3, s[sgprStrideD1J]                // Move coutRowPtr to next row
	;; [unrolled: 14-line block ×7, first 2 shown]
v_cmp_lt_u32 s[54:55], v0, s[sgprSizeI]            // coord0 < size0
v_cmp_lt_u32 s[58:59], v1, s[sgprSizeJ]            // coord1 < size1
s_and_b64 s[58:59], s[54:55], s[58:59]             // in0 && in1
_v_add_lshl_u32 v216, v2, v0, 0x2                  // scaleToBpe: accumulate d0 lower and *= bpe into Cin addr
v_cndmask_b32 v216, -1, v216, s[58:59]             // LDC clip if OOB. offset
_buffer_load_b128 v[220:223], v216, s[sgprSrdC:sgprSrdC+3], 0, offen offset:0 // load C for beta calc
_v_add_lshl_u32 v216, v3, v0, 0x2                  // scaleToBpe: accumulate d0 lower and *= bpe into Cin addr
v_cndmask_b32 v216, -1, v216, s[58:59]             // LDD clip if OOB. offset
/* (d1,vc1,d0,vc0)=(3,0,0,0) */
_v_add_co_u32 v1, vcc, v1, 9                       // coord1.1: coord1Vgpr += d1*sg1*VW + vc1

/* Fix for UseInitialStridesCD, emitAddressSetupCode */
s_mul_i32 s54, s[sgprStrideC1J], 9                 // scale stride
_v_add_u32 v2, v2, s54                             // ROWINC- Move cinRowPtr to next row
s_mul_i32 s54, s[sgprStrideD1J], 9                 // scale stride
_v_add_u32 v3, v3, s54                             // Move coutRowPtr to next row
v_cmp_lt_u32 s[54:55], v0, s[sgprSizeI]            // coord0 < size0
v_cmp_lt_u32 s[58:59], v1, s[sgprSizeJ]            // coord1 < size1
s_and_b64 s[58:59], s[54:55], s[58:59]             // in0 && in1
_v_add_lshl_u32 v217, v2, v0, 0x2                  // scaleToBpe: accumulate d0 lower and *= bpe into Cin addr
v_cndmask_b32 v217, -1, v217, s[58:59]             // LDC clip if OOB. offset
_buffer_load_b128 v[228:231], v217, s[sgprSrdC:sgprSrdC+3], 0, offen offset:0 // load C for beta calc
_v_add_lshl_u32 v217, v3, v0, 0x2                  // scaleToBpe: accumulate d0 lower and *= bpe into Cin addr
v_cndmask_b32 v217, -1, v217, s[58:59]             // LDD clip if OOB. offset
/* (d1,vc1,d0,vc0)=(3,1,0,0) */
_v_add_co_u32 v1, vcc, v1, 1                       // coord1.1: coord1Vgpr += d1*sg1*VW + vc1

/* Fix for UseInitialStridesCD, emitAddressSetupCode */
_v_add_u32 v2, v2, s[sgprStrideC1J]                // ROWINC- Move cinRowPtr to next row
_v_add_u32 v3, v3, s[sgprStrideD1J]                // Move coutRowPtr to next row
v_cmp_lt_u32 s[54:55], v0, s[sgprSizeI]            // coord0 < size0
v_cmp_lt_u32 s[58:59], v1, s[sgprSizeJ]            // coord1 < size1
s_and_b64 s[58:59], s[54:55], s[58:59]             // in0 && in1
_v_add_lshl_u32 v218, v2, v0, 0x2                  // scaleToBpe: accumulate d0 lower and *= bpe into Cin addr
v_cndmask_b32 v218, -1, v218, s[58:59]             // LDC clip if OOB. offset
_buffer_load_b128 v[236:239], v218, s[sgprSrdC:sgprSrdC+3], 0, offen offset:0 // load C for beta calc
_v_add_lshl_u32 v218, v3, v0, 0x2                  // scaleToBpe: accumulate d0 lower and *= bpe into Cin addr
v_cndmask_b32 v218, -1, v218, s[58:59]             // LDD clip if OOB. offset
v_accvgpr_read_b32 v[vgprValuC+12], acc0 // copy acc to vreg[0]
v_accvgpr_read_b32 v[vgprValuC+13], acc16 // copy acc to vreg[1]
v_accvgpr_read_b32 v[vgprValuC+14], acc32 // copy acc to vreg[2]
v_accvgpr_read_b32 v[vgprValuC+15], acc48 // copy acc to vreg[3]
v_accvgpr_read_b32 v[vgprValuC+20], acc64 // copy acc to vreg[4]
v_accvgpr_read_b32 v[vgprValuC+21], acc80 // copy acc to vreg[5]
v_accvgpr_read_b32 v[vgprValuC+22], acc96 // copy acc to vreg[6]
v_accvgpr_read_b32 v[vgprValuC+23], acc112 // copy acc to vreg[7]
v_accvgpr_read_b32 v[vgprValuC+32], acc1 // copy acc to vreg[8]
v_accvgpr_read_b32 v[vgprValuC+33], acc17 // copy acc to vreg[9]
v_accvgpr_read_b32 v[vgprValuC+34], acc33 // copy acc to vreg[10]
v_accvgpr_read_b32 v[vgprValuC+35], acc49 // copy acc to vreg[11]
v_accvgpr_read_b32 v[vgprValuC+40], acc65 // copy acc to vreg[12]
v_accvgpr_read_b32 v[vgprValuC+41], acc81 // copy acc to vreg[13]
v_accvgpr_read_b32 v[vgprValuC+42], acc97 // copy acc to vreg[14]
v_accvgpr_read_b32 v[vgprValuC+43], acc113 // copy acc to vreg[15]
v_accvgpr_read_b32 v[vgprValuC+48], acc2 // copy acc to vreg[16]
v_accvgpr_read_b32 v[vgprValuC+49], acc18 // copy acc to vreg[17]
v_accvgpr_read_b32 v[vgprValuC+50], acc34 // copy acc to vreg[18]
v_accvgpr_read_b32 v[vgprValuC+51], acc50 // copy acc to vreg[19]
v_accvgpr_read_b32 v[vgprValuC+64], acc66 // copy acc to vreg[20]
v_accvgpr_read_b32 v[vgprValuC+65], acc82 // copy acc to vreg[21]
v_accvgpr_read_b32 v[vgprValuC+66], acc98 // copy acc to vreg[22]
v_accvgpr_read_b32 v[vgprValuC+67], acc114 // copy acc to vreg[23]
v_accvgpr_read_b32 v[vgprValuC+72], acc3 // copy acc to vreg[24]
v_accvgpr_read_b32 v[vgprValuC+73], acc19 // copy acc to vreg[25]
v_accvgpr_read_b32 v[vgprValuC+74], acc35 // copy acc to vreg[26]
v_accvgpr_read_b32 v[vgprValuC+75], acc51 // copy acc to vreg[27]
v_accvgpr_read_b32 v[vgprValuC+80], acc67 // copy acc to vreg[28]
v_accvgpr_read_b32 v[vgprValuC+81], acc83 // copy acc to vreg[29]
v_accvgpr_read_b32 v[vgprValuC+82], acc99 // copy acc to vreg[30]
v_accvgpr_read_b32 v[vgprValuC+83], acc115 // copy acc to vreg[31]
v_accvgpr_read_b32 v[vgprValuC+88], acc4 // copy acc to vreg[32]
v_accvgpr_read_b32 v[vgprValuC+89], acc20 // copy acc to vreg[33]
v_accvgpr_read_b32 v[vgprValuC+90], acc36 // copy acc to vreg[34]
v_accvgpr_read_b32 v[vgprValuC+91], acc52 // copy acc to vreg[35]
v_accvgpr_read_b32 v[vgprValuC+96], acc68 // copy acc to vreg[36]
v_accvgpr_read_b32 v[vgprValuC+97], acc84 // copy acc to vreg[37]
v_accvgpr_read_b32 v[vgprValuC+98], acc100 // copy acc to vreg[38]
v_accvgpr_read_b32 v[vgprValuC+99], acc116 // copy acc to vreg[39]
v_accvgpr_read_b32 v[vgprValuC+104], acc5 // copy acc to vreg[40]
v_accvgpr_read_b32 v[vgprValuC+105], acc21 // copy acc to vreg[41]
v_accvgpr_read_b32 v[vgprValuC+106], acc37 // copy acc to vreg[42]
v_accvgpr_read_b32 v[vgprValuC+107], acc53 // copy acc to vreg[43]
v_accvgpr_read_b32 v[vgprValuC+116], acc69 // copy acc to vreg[44]
v_accvgpr_read_b32 v[vgprValuC+117], acc85 // copy acc to vreg[45]
v_accvgpr_read_b32 v[vgprValuC+118], acc101 // copy acc to vreg[46]
v_accvgpr_read_b32 v[vgprValuC+119], acc117 // copy acc to vreg[47]
v_accvgpr_read_b32 v[vgprValuC+124], acc6 // copy acc to vreg[48]
v_accvgpr_read_b32 v[vgprValuC+125], acc22 // copy acc to vreg[49]
v_accvgpr_read_b32 v[vgprValuC+126], acc38 // copy acc to vreg[50]
v_accvgpr_read_b32 v[vgprValuC+127], acc54 // copy acc to vreg[51]
v_accvgpr_read_b32 v[vgprValuC+132], acc70 // copy acc to vreg[52]
v_accvgpr_read_b32 v[vgprValuC+133], acc86 // copy acc to vreg[53]
v_accvgpr_read_b32 v[vgprValuC+134], acc102 // copy acc to vreg[54]
v_accvgpr_read_b32 v[vgprValuC+135], acc118 // copy acc to vreg[55]
v_accvgpr_read_b32 v[vgprValuC+140], acc7 // copy acc to vreg[56]
v_accvgpr_read_b32 v[vgprValuC+141], acc23 // copy acc to vreg[57]
v_accvgpr_read_b32 v[vgprValuC+142], acc39 // copy acc to vreg[58]
v_accvgpr_read_b32 v[vgprValuC+143], acc55 // copy acc to vreg[59]
v_accvgpr_read_b32 v[vgprValuC+152], acc71 // copy acc to vreg[60]
v_accvgpr_read_b32 v[vgprValuC+153], acc87 // copy acc to vreg[61]
v_accvgpr_read_b32 v[vgprValuC+154], acc103 // copy acc to vreg[62]
v_accvgpr_read_b32 v[vgprValuC+155], acc119 // copy acc to vreg[63]
v_accvgpr_read_b32 v[vgprValuC+160], acc8 // copy acc to vreg[64]
v_accvgpr_read_b32 v[vgprValuC+161], acc24 // copy acc to vreg[65]
v_accvgpr_read_b32 v[vgprValuC+162], acc40 // copy acc to vreg[66]
v_accvgpr_read_b32 v[vgprValuC+163], acc56 // copy acc to vreg[67]
v_accvgpr_read_b32 v[vgprValuC+168], acc72 // copy acc to vreg[68]
v_accvgpr_read_b32 v[vgprValuC+169], acc88 // copy acc to vreg[69]
v_accvgpr_read_b32 v[vgprValuC+170], acc104 // copy acc to vreg[70]
v_accvgpr_read_b32 v[vgprValuC+171], acc120 // copy acc to vreg[71]
v_accvgpr_read_b32 v[vgprValuC+176], acc9 // copy acc to vreg[72]
v_accvgpr_read_b32 v[vgprValuC+177], acc25 // copy acc to vreg[73]
v_accvgpr_read_b32 v[vgprValuC+178], acc41 // copy acc to vreg[74]
v_accvgpr_read_b32 v[vgprValuC+179], acc57 // copy acc to vreg[75]
v_accvgpr_read_b32 v[vgprValuC+188], acc73 // copy acc to vreg[76]
v_accvgpr_read_b32 v[vgprValuC+189], acc89 // copy acc to vreg[77]
v_accvgpr_read_b32 v[vgprValuC+190], acc105 // copy acc to vreg[78]
v_accvgpr_read_b32 v[vgprValuC+191], acc121 // copy acc to vreg[79]
v_accvgpr_read_b32 v[vgprValuC+196], acc10 // copy acc to vreg[80]
v_accvgpr_read_b32 v[vgprValuC+197], acc26 // copy acc to vreg[81]
v_accvgpr_read_b32 v[vgprValuC+198], acc42 // copy acc to vreg[82]
v_accvgpr_read_b32 v[vgprValuC+199], acc58 // copy acc to vreg[83]
v_accvgpr_read_b32 v[vgprValuC+204], acc74 // copy acc to vreg[84]
v_accvgpr_read_b32 v[vgprValuC+205], acc90 // copy acc to vreg[85]
v_accvgpr_read_b32 v[vgprValuC+206], acc106 // copy acc to vreg[86]
v_accvgpr_read_b32 v[vgprValuC+207], acc122 // copy acc to vreg[87]
v_accvgpr_read_b32 v[vgprValuC+212], acc11 // copy acc to vreg[88]
v_accvgpr_read_b32 v[vgprValuC+213], acc27 // copy acc to vreg[89]
v_accvgpr_read_b32 v[vgprValuC+214], acc43 // copy acc to vreg[90]
v_accvgpr_read_b32 v[vgprValuC+215], acc59 // copy acc to vreg[91]
v_accvgpr_read_b32 v[vgprValuC+224], acc75 // copy acc to vreg[92]
v_accvgpr_read_b32 v[vgprValuC+225], acc91 // copy acc to vreg[93]
v_accvgpr_read_b32 v[vgprValuC+226], acc107 // copy acc to vreg[94]
v_accvgpr_read_b32 v[vgprValuC+227], acc123 // copy acc to vreg[95]
v_accvgpr_read_b32 v[vgprValuC+232], acc12 // copy acc to vreg[96]
v_accvgpr_read_b32 v[vgprValuC+233], acc28 // copy acc to vreg[97]
v_accvgpr_read_b32 v[vgprValuC+234], acc44 // copy acc to vreg[98]
v_accvgpr_read_b32 v[vgprValuC+235], acc60 // copy acc to vreg[99]
v_accvgpr_read_b32 v[vgprValuC+240], acc76 // copy acc to vreg[100]
v_accvgpr_read_b32 v[vgprValuC+241], acc92 // copy acc to vreg[101]
v_accvgpr_read_b32 v[vgprValuC+242], acc108 // copy acc to vreg[102]
v_accvgpr_read_b32 v[vgprValuC+243], acc124 // copy acc to vreg[103]
s_nop 1                                            // 2 wait states required before reading vgpr

/* rC *= alpha batchElements=[(0, 0, 0, 0), (0, 0, 1, 0), (0, 0, 2, 0), (0, 0, 3, 0), (0, 0, 4, 0), (0, 0, 5, 0), (0, 0, 6, 0), (0, 0, 7, 0), (1, 0, 0, 0), (1, 0, 1, 0), (1, 0, 2, 0), (1, 0, 3, 0), (1, 0, 4, 0), (1, 0, 5, 0), (1, 0, 6, 0), (1, 0, 7, 0), (2, 0, 0, 0), (2, 0, 1, 0), (2, 0, 2, 0), (2, 0, 3, 0), (2, 0, 4, 0), (2, 0, 5, 0), (2, 0, 6, 0), (2, 0, 7, 0), (3, 0, 0, 0), (3, 0, 1, 0)] */
v_mul_f32 v[vgprValuC+12], s[sgprAlpha], v[vgprValuC+12] // *= alpha
v_mul_f32 v[vgprValuC+13], s[sgprAlpha], v[vgprValuC+13] // *= alpha
	;; [unrolled: 1-line block ×104, first 2 shown]
s_waitcnt vmcnt(0)                                 // wait C

/* apply mask, calc new C and issue writes */
_v_mac_f32 v[vgprValuC+12], v8, s[sgprBeta]        // finalSum = sum*alpha + C*beta
_v_mac_f32 v[vgprValuC+13], v9, s[sgprBeta]        // finalSum = sum*alpha + C*beta
_v_mac_f32 v[vgprValuC+14], v10, s[sgprBeta]       // finalSum = sum*alpha + C*beta
_v_mac_f32 v[vgprValuC+15], v11, s[sgprBeta]       // finalSum = sum*alpha + C*beta
_buffer_store_b128 v[12:15], v6, s[sgprSrdD:sgprSrdD+3], 0, offen, offset:0 // store D
_v_mac_f32 v[vgprValuC+20], v16, s[sgprBeta]       // finalSum = sum*alpha + C*beta
_v_mac_f32 v[vgprValuC+21], v17, s[sgprBeta]       // finalSum = sum*alpha + C*beta
_v_mac_f32 v[vgprValuC+22], v18, s[sgprBeta]       // finalSum = sum*alpha + C*beta
_v_mac_f32 v[vgprValuC+23], v19, s[sgprBeta]       // finalSum = sum*alpha + C*beta
_buffer_store_b128 v[20:23], v7, s[sgprSrdD:sgprSrdD+3], 0, offen, offset:0 // store D
_v_mac_f32 v[vgprValuC+32], v28, s[sgprBeta]       // finalSum = sum*alpha + C*beta
_v_mac_f32 v[vgprValuC+33], v29, s[sgprBeta]       // finalSum = sum*alpha + C*beta
_v_mac_f32 v[vgprValuC+34], v30, s[sgprBeta]       // finalSum = sum*alpha + C*beta
_v_mac_f32 v[vgprValuC+35], v31, s[sgprBeta]       // finalSum = sum*alpha + C*beta
_buffer_store_b128 v[32:35], v24, s[sgprSrdD:sgprSrdD+3], 0, offen, offset:0 // store D
_v_mac_f32 v[vgprValuC+40], v36, s[sgprBeta]       // finalSum = sum*alpha + C*beta
_v_mac_f32 v[vgprValuC+41], v37, s[sgprBeta]       // finalSum = sum*alpha + C*beta
_v_mac_f32 v[vgprValuC+42], v38, s[sgprBeta]       // finalSum = sum*alpha + C*beta
_v_mac_f32 v[vgprValuC+43], v39, s[sgprBeta]       // finalSum = sum*alpha + C*beta
_buffer_store_b128 v[40:43], v25, s[sgprSrdD:sgprSrdD+3], 0, offen, offset:0 // store D
_v_mac_f32 v[vgprValuC+48], v44, s[sgprBeta]       // finalSum = sum*alpha + C*beta
_v_mac_f32 v[vgprValuC+49], v45, s[sgprBeta]       // finalSum = sum*alpha + C*beta
_v_mac_f32 v[vgprValuC+50], v46, s[sgprBeta]       // finalSum = sum*alpha + C*beta
_v_mac_f32 v[vgprValuC+51], v47, s[sgprBeta]       // finalSum = sum*alpha + C*beta
_buffer_store_b128 v[48:51], v26, s[sgprSrdD:sgprSrdD+3], 0, offen, offset:0 // store D
_v_mac_f32 v[vgprValuC+64], v60, s[sgprBeta]       // finalSum = sum*alpha + C*beta
_v_mac_f32 v[vgprValuC+65], v61, s[sgprBeta]       // finalSum = sum*alpha + C*beta
_v_mac_f32 v[vgprValuC+66], v62, s[sgprBeta]       // finalSum = sum*alpha + C*beta
_v_mac_f32 v[vgprValuC+67], v63, s[sgprBeta]       // finalSum = sum*alpha + C*beta
_buffer_store_b128 v[64:67], v27, s[sgprSrdD:sgprSrdD+3], 0, offen, offset:0 // store D
_v_mac_f32 v[vgprValuC+72], v68, s[sgprBeta]       // finalSum = sum*alpha + C*beta
_v_mac_f32 v[vgprValuC+73], v69, s[sgprBeta]       // finalSum = sum*alpha + C*beta
_v_mac_f32 v[vgprValuC+74], v70, s[sgprBeta]       // finalSum = sum*alpha + C*beta
_v_mac_f32 v[vgprValuC+75], v71, s[sgprBeta]       // finalSum = sum*alpha + C*beta
_buffer_store_b128 v[72:75], v52, s[sgprSrdD:sgprSrdD+3], 0, offen, offset:0 // store D
_v_mac_f32 v[vgprValuC+80], v76, s[sgprBeta]       // finalSum = sum*alpha + C*beta
_v_mac_f32 v[vgprValuC+81], v77, s[sgprBeta]       // finalSum = sum*alpha + C*beta
_v_mac_f32 v[vgprValuC+82], v78, s[sgprBeta]       // finalSum = sum*alpha + C*beta
_v_mac_f32 v[vgprValuC+83], v79, s[sgprBeta]       // finalSum = sum*alpha + C*beta
_buffer_store_b128 v[80:83], v53, s[sgprSrdD:sgprSrdD+3], 0, offen, offset:0 // store D
_v_mac_f32 v[vgprValuC+88], v84, s[sgprBeta]       // finalSum = sum*alpha + C*beta
_v_mac_f32 v[vgprValuC+89], v85, s[sgprBeta]       // finalSum = sum*alpha + C*beta
_v_mac_f32 v[vgprValuC+90], v86, s[sgprBeta]       // finalSum = sum*alpha + C*beta
_v_mac_f32 v[vgprValuC+91], v87, s[sgprBeta]       // finalSum = sum*alpha + C*beta
_buffer_store_b128 v[88:91], v57, s[sgprSrdD:sgprSrdD+3], 0, offen, offset:0 // store D
_v_mac_f32 v[vgprValuC+96], v92, s[sgprBeta]       // finalSum = sum*alpha + C*beta
_v_mac_f32 v[vgprValuC+97], v93, s[sgprBeta]       // finalSum = sum*alpha + C*beta
_v_mac_f32 v[vgprValuC+98], v94, s[sgprBeta]       // finalSum = sum*alpha + C*beta
_v_mac_f32 v[vgprValuC+99], v95, s[sgprBeta]       // finalSum = sum*alpha + C*beta
_buffer_store_b128 v[96:99], v58, s[sgprSrdD:sgprSrdD+3], 0, offen, offset:0 // store D
_v_mac_f32 v[vgprValuC+104], v100, s[sgprBeta]     // finalSum = sum*alpha + C*beta
_v_mac_f32 v[vgprValuC+105], v101, s[sgprBeta]     // finalSum = sum*alpha + C*beta
_v_mac_f32 v[vgprValuC+106], v102, s[sgprBeta]     // finalSum = sum*alpha + C*beta
_v_mac_f32 v[vgprValuC+107], v103, s[sgprBeta]     // finalSum = sum*alpha + C*beta
_buffer_store_b128 v[104:107], v59, s[sgprSrdD:sgprSrdD+3], 0, offen, offset:0 // store D
_v_mac_f32 v[vgprValuC+116], v112, s[sgprBeta]     // finalSum = sum*alpha + C*beta
_v_mac_f32 v[vgprValuC+117], v113, s[sgprBeta]     // finalSum = sum*alpha + C*beta
_v_mac_f32 v[vgprValuC+118], v114, s[sgprBeta]     // finalSum = sum*alpha + C*beta
_v_mac_f32 v[vgprValuC+119], v115, s[sgprBeta]     // finalSum = sum*alpha + C*beta
	;; [unrolled: 5-line block ×16, first 2 shown]
_buffer_store_b128 v[240:243], v218, s[sgprSrdD:sgprSrdD+3], 0, offen, offset:0 // store D
s_nop 0                                            // 1 wait state required when next inst writes vgprs held by previous dwordx4 store inst
/* optSingleColVgpr=0 optSharedColVgpr=0 optSGPRUsage=BufferLoad_Edge_Mask optSrdIncForRow=0 */

/******************************************/
/* Global Write Alpha Beta Edge Batch #1 (d1,d0,vc1,vc0) = */
/*    (3,0,2,0:vw4); (3,0,3,0:vw4); (3,0,4,0:vw4); (3,0,5,0:vw4); (3,0,6,0:vw4); (3,0,7,0:vw4); (4,0,0,0:vw4); (4,0,1,0:vw4); (4,0,2,0:vw4); (4,0,3,0:vw4); (4,0,4,0:vw4); (4,0,5,0:vw4); (4,0,6,0:vw4); (4,0,7,0:vw4); (5,0,0,0:vw4); (5,0,1,0:vw4); (5,0,2,0:vw4); (5,0,3,0:vw4); (5,0,4,0:vw4); (5,0,5,0:vw4); (5,0,6,0:vw4); (5,0,7,0:vw4); (6,0,0,0:vw4); (6,0,1,0:vw4); (6,0,2,0:vw4); (6,0,3,0:vw4) */
/******************************************/

/* calc coords, apply mask, and issue loads (if necessary) */
/* (d1,vc1,d0,vc0)=(3,2,0,0) */
_v_add_co_u32 v1, vcc, v1, 1                       // coord1.1: coord1Vgpr += d1*sg1*VW + vc1

/* Fix for UseInitialStridesCD, emitAddressSetupCode */
_v_add_u32 v2, v2, s[sgprStrideC1J]                // ROWINC- Move cinRowPtr to next row
_v_add_u32 v3, v3, s[sgprStrideD1J]                // Move coutRowPtr to next row
v_cmp_lt_u32 s[54:55], v0, s[sgprSizeI]            // coord0 < size0
v_cmp_lt_u32 s[58:59], v1, s[sgprSizeJ]            // coord1 < size1
s_and_b64 s[58:59], s[54:55], s[58:59]             // in0 && in1
_v_add_lshl_u32 v6, v2, v0, 0x2                    // scaleToBpe: accumulate d0 lower and *= bpe into Cin addr
v_cndmask_b32 v6, -1, v6, s[58:59]                 // LDC clip if OOB. offset
_buffer_load_b128 v[8:11], v6, s[sgprSrdC:sgprSrdC+3], 0, offen offset:0 // load C for beta calc
_v_add_lshl_u32 v6, v3, v0, 0x2                    // scaleToBpe: accumulate d0 lower and *= bpe into Cin addr
v_cndmask_b32 v6, -1, v6, s[58:59]                 // LDD clip if OOB. offset
/* (d1,vc1,d0,vc0)=(3,3,0,0) */
_v_add_co_u32 v1, vcc, v1, 1                       // coord1.1: coord1Vgpr += d1*sg1*VW + vc1

/* Fix for UseInitialStridesCD, emitAddressSetupCode */
_v_add_u32 v2, v2, s[sgprStrideC1J]                // ROWINC- Move cinRowPtr to next row
_v_add_u32 v3, v3, s[sgprStrideD1J]                // Move coutRowPtr to next row
v_cmp_lt_u32 s[54:55], v0, s[sgprSizeI]            // coord0 < size0
v_cmp_lt_u32 s[58:59], v1, s[sgprSizeJ]            // coord1 < size1
s_and_b64 s[58:59], s[54:55], s[58:59]             // in0 && in1
_v_add_lshl_u32 v7, v2, v0, 0x2                    // scaleToBpe: accumulate d0 lower and *= bpe into Cin addr
v_cndmask_b32 v7, -1, v7, s[58:59]                 // LDC clip if OOB. offset
_buffer_load_b128 v[16:19], v7, s[sgprSrdC:sgprSrdC+3], 0, offen offset:0 // load C for beta calc
_v_add_lshl_u32 v7, v3, v0, 0x2                    // scaleToBpe: accumulate d0 lower and *= bpe into Cin addr
v_cndmask_b32 v7, -1, v7, s[58:59]                 // LDD clip if OOB. offset
/* (d1,vc1,d0,vc0)=(3,4,0,0) */
_v_add_co_u32 v1, vcc, v1, 1                       // coord1.1: coord1Vgpr += d1*sg1*VW + vc1

/* Fix for UseInitialStridesCD, emitAddressSetupCode */
_v_add_u32 v2, v2, s[sgprStrideC1J]                // ROWINC- Move cinRowPtr to next row
_v_add_u32 v3, v3, s[sgprStrideD1J]                // Move coutRowPtr to next row
v_cmp_lt_u32 s[54:55], v0, s[sgprSizeI]            // coord0 < size0
v_cmp_lt_u32 s[58:59], v1, s[sgprSizeJ]            // coord1 < size1
s_and_b64 s[58:59], s[54:55], s[58:59]             // in0 && in1
_v_add_lshl_u32 v24, v2, v0, 0x2                   // scaleToBpe: accumulate d0 lower and *= bpe into Cin addr
v_cndmask_b32 v24, -1, v24, s[58:59]               // LDC clip if OOB. offset
_buffer_load_b128 v[28:31], v24, s[sgprSrdC:sgprSrdC+3], 0, offen offset:0 // load C for beta calc
_v_add_lshl_u32 v24, v3, v0, 0x2                   // scaleToBpe: accumulate d0 lower and *= bpe into Cin addr
v_cndmask_b32 v24, -1, v24, s[58:59]               // LDD clip if OOB. offset
/* (d1,vc1,d0,vc0)=(3,5,0,0) */
_v_add_co_u32 v1, vcc, v1, 1                       // coord1.1: coord1Vgpr += d1*sg1*VW + vc1

/* Fix for UseInitialStridesCD, emitAddressSetupCode */
_v_add_u32 v2, v2, s[sgprStrideC1J]                // ROWINC- Move cinRowPtr to next row
_v_add_u32 v3, v3, s[sgprStrideD1J]                // Move coutRowPtr to next row
v_cmp_lt_u32 s[54:55], v0, s[sgprSizeI]            // coord0 < size0
v_cmp_lt_u32 s[58:59], v1, s[sgprSizeJ]            // coord1 < size1
s_and_b64 s[58:59], s[54:55], s[58:59]             // in0 && in1
_v_add_lshl_u32 v25, v2, v0, 0x2                   // scaleToBpe: accumulate d0 lower and *= bpe into Cin addr
v_cndmask_b32 v25, -1, v25, s[58:59]               // LDC clip if OOB. offset
_buffer_load_b128 v[36:39], v25, s[sgprSrdC:sgprSrdC+3], 0, offen offset:0 // load C for beta calc
_v_add_lshl_u32 v25, v3, v0, 0x2                   // scaleToBpe: accumulate d0 lower and *= bpe into Cin addr
v_cndmask_b32 v25, -1, v25, s[58:59]               // LDD clip if OOB. offset
	;; [unrolled: 14-line block ×4, first 2 shown]
/* (d1,vc1,d0,vc0)=(4,0,0,0) */
s_mov_b32 s54, 73                                  // rowInc d1=0 vc1=0
_v_add_co_u32 v1, vcc, v1, s54                     // coord1.2: coord1 += d1*sg1*VW + vc1

/* Fix for UseInitialStridesCD, emitAddressSetupCode */
s_mul_i32 s54, s[sgprStrideC1J], 73                // scale stride
_v_add_u32 v2, v2, s54                             // ROWINC- Move cinRowPtr to next row
s_mul_i32 s54, s[sgprStrideD1J], 73                // scale stride
_v_add_u32 v3, v3, s54                             // Move coutRowPtr to next row
v_cmp_lt_u32 s[54:55], v0, s[sgprSizeI]            // coord0 < size0
v_cmp_lt_u32 s[58:59], v1, s[sgprSizeJ]            // coord1 < size1
s_and_b64 s[58:59], s[54:55], s[58:59]             // in0 && in1
_v_add_lshl_u32 v52, v2, v0, 0x2                   // scaleToBpe: accumulate d0 lower and *= bpe into Cin addr
v_cndmask_b32 v52, -1, v52, s[58:59]               // LDC clip if OOB. offset
_buffer_load_b128 v[68:71], v52, s[sgprSrdC:sgprSrdC+3], 0, offen offset:0 // load C for beta calc
_v_add_lshl_u32 v52, v3, v0, 0x2                   // scaleToBpe: accumulate d0 lower and *= bpe into Cin addr
v_cndmask_b32 v52, -1, v52, s[58:59]               // LDD clip if OOB. offset
/* (d1,vc1,d0,vc0)=(4,1,0,0) */
_v_add_co_u32 v1, vcc, v1, 1                       // coord1.1: coord1Vgpr += d1*sg1*VW + vc1

/* Fix for UseInitialStridesCD, emitAddressSetupCode */
_v_add_u32 v2, v2, s[sgprStrideC1J]                // ROWINC- Move cinRowPtr to next row
_v_add_u32 v3, v3, s[sgprStrideD1J]                // Move coutRowPtr to next row
v_cmp_lt_u32 s[54:55], v0, s[sgprSizeI]            // coord0 < size0
v_cmp_lt_u32 s[58:59], v1, s[sgprSizeJ]            // coord1 < size1
s_and_b64 s[58:59], s[54:55], s[58:59]             // in0 && in1
_v_add_lshl_u32 v53, v2, v0, 0x2                   // scaleToBpe: accumulate d0 lower and *= bpe into Cin addr
v_cndmask_b32 v53, -1, v53, s[58:59]               // LDC clip if OOB. offset
_buffer_load_b128 v[76:79], v53, s[sgprSrdC:sgprSrdC+3], 0, offen offset:0 // load C for beta calc
_v_add_lshl_u32 v53, v3, v0, 0x2                   // scaleToBpe: accumulate d0 lower and *= bpe into Cin addr
v_cndmask_b32 v53, -1, v53, s[58:59]               // LDD clip if OOB. offset
/* (d1,vc1,d0,vc0)=(4,2,0,0) */
_v_add_co_u32 v1, vcc, v1, 1                       // coord1.1: coord1Vgpr += d1*sg1*VW + vc1

/* Fix for UseInitialStridesCD, emitAddressSetupCode */
_v_add_u32 v2, v2, s[sgprStrideC1J]                // ROWINC- Move cinRowPtr to next row
_v_add_u32 v3, v3, s[sgprStrideD1J]                // Move coutRowPtr to next row
	;; [unrolled: 14-line block ×5, first 2 shown]
v_cmp_lt_u32 s[54:55], v0, s[sgprSizeI]            // coord0 < size0
v_cmp_lt_u32 s[58:59], v1, s[sgprSizeJ]            // coord1 < size1
s_and_b64 s[58:59], s[54:55], s[58:59]             // in0 && in1
_v_add_lshl_u32 v108, v2, v0, 0x2                  // scaleToBpe: accumulate d0 lower and *= bpe into Cin addr
v_cndmask_b32 v108, -1, v108, s[58:59]             // LDC clip if OOB. offset
_buffer_load_b128 v[112:115], v108, s[sgprSrdC:sgprSrdC+3], 0, offen offset:0 // load C for beta calc
_v_add_lshl_u32 v108, v3, v0, 0x2                  // scaleToBpe: accumulate d0 lower and *= bpe into Cin addr
v_cndmask_b32 v108, -1, v108, s[58:59]             // LDD clip if OOB. offset
/* (d1,vc1,d0,vc0)=(4,6,0,0) */
_v_add_co_u32 v1, vcc, v1, 1                       // coord1.1: coord1Vgpr += d1*sg1*VW + vc1

/* Fix for UseInitialStridesCD, emitAddressSetupCode */
_v_add_u32 v2, v2, s[sgprStrideC1J]                // ROWINC- Move cinRowPtr to next row
_v_add_u32 v3, v3, s[sgprStrideD1J]                // Move coutRowPtr to next row
v_cmp_lt_u32 s[54:55], v0, s[sgprSizeI]            // coord0 < size0
v_cmp_lt_u32 s[58:59], v1, s[sgprSizeJ]            // coord1 < size1
s_and_b64 s[58:59], s[54:55], s[58:59]             // in0 && in1
_v_add_lshl_u32 v109, v2, v0, 0x2                  // scaleToBpe: accumulate d0 lower and *= bpe into Cin addr
v_cndmask_b32 v109, -1, v109, s[58:59]             // LDC clip if OOB. offset
_buffer_load_b128 v[120:123], v109, s[sgprSrdC:sgprSrdC+3], 0, offen offset:0 // load C for beta calc
_v_add_lshl_u32 v109, v3, v0, 0x2                  // scaleToBpe: accumulate d0 lower and *= bpe into Cin addr
v_cndmask_b32 v109, -1, v109, s[58:59]             // LDD clip if OOB. offset
/* (d1,vc1,d0,vc0)=(4,7,0,0) */
_v_add_co_u32 v1, vcc, v1, 1                       // coord1.1: coord1Vgpr += d1*sg1*VW + vc1

/* Fix for UseInitialStridesCD, emitAddressSetupCode */
_v_add_u32 v2, v2, s[sgprStrideC1J]                // ROWINC- Move cinRowPtr to next row
_v_add_u32 v3, v3, s[sgprStrideD1J]                // Move coutRowPtr to next row
v_cmp_lt_u32 s[54:55], v0, s[sgprSizeI]            // coord0 < size0
v_cmp_lt_u32 s[58:59], v1, s[sgprSizeJ]            // coord1 < size1
s_and_b64 s[58:59], s[54:55], s[58:59]             // in0 && in1
_v_add_lshl_u32 v110, v2, v0, 0x2                  // scaleToBpe: accumulate d0 lower and *= bpe into Cin addr
v_cndmask_b32 v110, -1, v110, s[58:59]             // LDC clip if OOB. offset
_buffer_load_b128 v[128:131], v110, s[sgprSrdC:sgprSrdC+3], 0, offen offset:0 // load C for beta calc
_v_add_lshl_u32 v110, v3, v0, 0x2                  // scaleToBpe: accumulate d0 lower and *= bpe into Cin addr
v_cndmask_b32 v110, -1, v110, s[58:59]             // LDD clip if OOB. offset
/* (d1,vc1,d0,vc0)=(5,0,0,0) */
_v_add_co_u32 v1, vcc, v1, 9                       // coord1.1: coord1Vgpr += d1*sg1*VW + vc1

/* Fix for UseInitialStridesCD, emitAddressSetupCode */
s_mul_i32 s54, s[sgprStrideC1J], 9                 // scale stride
_v_add_u32 v2, v2, s54                             // ROWINC- Move cinRowPtr to next row
s_mul_i32 s54, s[sgprStrideD1J], 9                 // scale stride
_v_add_u32 v3, v3, s54                             // Move coutRowPtr to next row
v_cmp_lt_u32 s[54:55], v0, s[sgprSizeI]            // coord0 < size0
v_cmp_lt_u32 s[58:59], v1, s[sgprSizeJ]            // coord1 < size1
s_and_b64 s[58:59], s[54:55], s[58:59]             // in0 && in1
_v_add_lshl_u32 v111, v2, v0, 0x2                  // scaleToBpe: accumulate d0 lower and *= bpe into Cin addr
v_cndmask_b32 v111, -1, v111, s[58:59]             // LDC clip if OOB. offset
_buffer_load_b128 v[136:139], v111, s[sgprSrdC:sgprSrdC+3], 0, offen offset:0 // load C for beta calc
_v_add_lshl_u32 v111, v3, v0, 0x2                  // scaleToBpe: accumulate d0 lower and *= bpe into Cin addr
v_cndmask_b32 v111, -1, v111, s[58:59]             // LDD clip if OOB. offset
/* (d1,vc1,d0,vc0)=(5,1,0,0) */
_v_add_co_u32 v1, vcc, v1, 1                       // coord1.1: coord1Vgpr += d1*sg1*VW + vc1

/* Fix for UseInitialStridesCD, emitAddressSetupCode */
_v_add_u32 v2, v2, s[sgprStrideC1J]                // ROWINC- Move cinRowPtr to next row
_v_add_u32 v3, v3, s[sgprStrideD1J]                // Move coutRowPtr to next row
v_cmp_lt_u32 s[54:55], v0, s[sgprSizeI]            // coord0 < size0
v_cmp_lt_u32 s[58:59], v1, s[sgprSizeJ]            // coord1 < size1
s_and_b64 s[58:59], s[54:55], s[58:59]             // in0 && in1
_v_add_lshl_u32 v144, v2, v0, 0x2                  // scaleToBpe: accumulate d0 lower and *= bpe into Cin addr
v_cndmask_b32 v144, -1, v144, s[58:59]             // LDC clip if OOB. offset
_buffer_load_b128 v[148:151], v144, s[sgprSrdC:sgprSrdC+3], 0, offen offset:0 // load C for beta calc
_v_add_lshl_u32 v144, v3, v0, 0x2                  // scaleToBpe: accumulate d0 lower and *= bpe into Cin addr
v_cndmask_b32 v144, -1, v144, s[58:59]             // LDD clip if OOB. offset
/* (d1,vc1,d0,vc0)=(5,2,0,0) */
_v_add_co_u32 v1, vcc, v1, 1                       // coord1.1: coord1Vgpr += d1*sg1*VW + vc1

/* Fix for UseInitialStridesCD, emitAddressSetupCode */
_v_add_u32 v2, v2, s[sgprStrideC1J]                // ROWINC- Move cinRowPtr to next row
_v_add_u32 v3, v3, s[sgprStrideD1J]                // Move coutRowPtr to next row
	;; [unrolled: 14-line block ×7, first 2 shown]
v_cmp_lt_u32 s[54:55], v0, s[sgprSizeI]            // coord0 < size0
v_cmp_lt_u32 s[58:59], v1, s[sgprSizeJ]            // coord1 < size1
s_and_b64 s[58:59], s[54:55], s[58:59]             // in0 && in1
_v_add_lshl_u32 v182, v2, v0, 0x2                  // scaleToBpe: accumulate d0 lower and *= bpe into Cin addr
v_cndmask_b32 v182, -1, v182, s[58:59]             // LDC clip if OOB. offset
_buffer_load_b128 v[200:203], v182, s[sgprSrdC:sgprSrdC+3], 0, offen offset:0 // load C for beta calc
_v_add_lshl_u32 v182, v3, v0, 0x2                  // scaleToBpe: accumulate d0 lower and *= bpe into Cin addr
v_cndmask_b32 v182, -1, v182, s[58:59]             // LDD clip if OOB. offset
/* (d1,vc1,d0,vc0)=(6,0,0,0) */
_v_add_co_u32 v1, vcc, v1, 9                       // coord1.1: coord1Vgpr += d1*sg1*VW + vc1

/* Fix for UseInitialStridesCD, emitAddressSetupCode */
s_mul_i32 s54, s[sgprStrideC1J], 9                 // scale stride
_v_add_u32 v2, v2, s54                             // ROWINC- Move cinRowPtr to next row
s_mul_i32 s54, s[sgprStrideD1J], 9                 // scale stride
_v_add_u32 v3, v3, s54                             // Move coutRowPtr to next row
v_cmp_lt_u32 s[54:55], v0, s[sgprSizeI]            // coord0 < size0
v_cmp_lt_u32 s[58:59], v1, s[sgprSizeJ]            // coord1 < size1
s_and_b64 s[58:59], s[54:55], s[58:59]             // in0 && in1
_v_add_lshl_u32 v183, v2, v0, 0x2                  // scaleToBpe: accumulate d0 lower and *= bpe into Cin addr
v_cndmask_b32 v183, -1, v183, s[58:59]             // LDC clip if OOB. offset
_buffer_load_b128 v[208:211], v183, s[sgprSrdC:sgprSrdC+3], 0, offen offset:0 // load C for beta calc
_v_add_lshl_u32 v183, v3, v0, 0x2                  // scaleToBpe: accumulate d0 lower and *= bpe into Cin addr
v_cndmask_b32 v183, -1, v183, s[58:59]             // LDD clip if OOB. offset
/* (d1,vc1,d0,vc0)=(6,1,0,0) */
_v_add_co_u32 v1, vcc, v1, 1                       // coord1.1: coord1Vgpr += d1*sg1*VW + vc1

/* Fix for UseInitialStridesCD, emitAddressSetupCode */
_v_add_u32 v2, v2, s[sgprStrideC1J]                // ROWINC- Move cinRowPtr to next row
_v_add_u32 v3, v3, s[sgprStrideD1J]                // Move coutRowPtr to next row
v_cmp_lt_u32 s[54:55], v0, s[sgprSizeI]            // coord0 < size0
v_cmp_lt_u32 s[58:59], v1, s[sgprSizeJ]            // coord1 < size1
s_and_b64 s[58:59], s[54:55], s[58:59]             // in0 && in1
_v_add_lshl_u32 v216, v2, v0, 0x2                  // scaleToBpe: accumulate d0 lower and *= bpe into Cin addr
v_cndmask_b32 v216, -1, v216, s[58:59]             // LDC clip if OOB. offset
_buffer_load_b128 v[220:223], v216, s[sgprSrdC:sgprSrdC+3], 0, offen offset:0 // load C for beta calc
_v_add_lshl_u32 v216, v3, v0, 0x2                  // scaleToBpe: accumulate d0 lower and *= bpe into Cin addr
v_cndmask_b32 v216, -1, v216, s[58:59]             // LDD clip if OOB. offset
/* (d1,vc1,d0,vc0)=(6,2,0,0) */
_v_add_co_u32 v1, vcc, v1, 1                       // coord1.1: coord1Vgpr += d1*sg1*VW + vc1

/* Fix for UseInitialStridesCD, emitAddressSetupCode */
_v_add_u32 v2, v2, s[sgprStrideC1J]                // ROWINC- Move cinRowPtr to next row
_v_add_u32 v3, v3, s[sgprStrideD1J]                // Move coutRowPtr to next row
	;; [unrolled: 14-line block ×3, first 2 shown]
v_cmp_lt_u32 s[54:55], v0, s[sgprSizeI]            // coord0 < size0
v_cmp_lt_u32 s[58:59], v1, s[sgprSizeJ]            // coord1 < size1
s_and_b64 s[58:59], s[54:55], s[58:59]             // in0 && in1
_v_add_lshl_u32 v218, v2, v0, 0x2                  // scaleToBpe: accumulate d0 lower and *= bpe into Cin addr
v_cndmask_b32 v218, -1, v218, s[58:59]             // LDC clip if OOB. offset
_buffer_load_b128 v[236:239], v218, s[sgprSrdC:sgprSrdC+3], 0, offen offset:0 // load C for beta calc
_v_add_lshl_u32 v218, v3, v0, 0x2                  // scaleToBpe: accumulate d0 lower and *= bpe into Cin addr
v_cndmask_b32 v218, -1, v218, s[58:59]             // LDD clip if OOB. offset
v_accvgpr_read_b32 v[vgprValuC+12], acc13 // copy acc to vreg[104]
v_accvgpr_read_b32 v[vgprValuC+13], acc29 // copy acc to vreg[105]
v_accvgpr_read_b32 v[vgprValuC+14], acc45 // copy acc to vreg[106]
v_accvgpr_read_b32 v[vgprValuC+15], acc61 // copy acc to vreg[107]
v_accvgpr_read_b32 v[vgprValuC+20], acc77 // copy acc to vreg[108]
v_accvgpr_read_b32 v[vgprValuC+21], acc93 // copy acc to vreg[109]
v_accvgpr_read_b32 v[vgprValuC+22], acc109 // copy acc to vreg[110]
v_accvgpr_read_b32 v[vgprValuC+23], acc125 // copy acc to vreg[111]
v_accvgpr_read_b32 v[vgprValuC+32], acc14 // copy acc to vreg[112]
v_accvgpr_read_b32 v[vgprValuC+33], acc30 // copy acc to vreg[113]
v_accvgpr_read_b32 v[vgprValuC+34], acc46 // copy acc to vreg[114]
v_accvgpr_read_b32 v[vgprValuC+35], acc62 // copy acc to vreg[115]
v_accvgpr_read_b32 v[vgprValuC+40], acc78 // copy acc to vreg[116]
v_accvgpr_read_b32 v[vgprValuC+41], acc94 // copy acc to vreg[117]
v_accvgpr_read_b32 v[vgprValuC+42], acc110 // copy acc to vreg[118]
v_accvgpr_read_b32 v[vgprValuC+43], acc126 // copy acc to vreg[119]
v_accvgpr_read_b32 v[vgprValuC+48], acc15 // copy acc to vreg[120]
v_accvgpr_read_b32 v[vgprValuC+49], acc31 // copy acc to vreg[121]
v_accvgpr_read_b32 v[vgprValuC+50], acc47 // copy acc to vreg[122]
v_accvgpr_read_b32 v[vgprValuC+51], acc63 // copy acc to vreg[123]
v_accvgpr_read_b32 v[vgprValuC+64], acc79 // copy acc to vreg[124]
v_accvgpr_read_b32 v[vgprValuC+65], acc95 // copy acc to vreg[125]
v_accvgpr_read_b32 v[vgprValuC+66], acc111 // copy acc to vreg[126]
v_accvgpr_read_b32 v[vgprValuC+67], acc127 // copy acc to vreg[127]
v_accvgpr_read_b32 v[vgprValuC+72], acc128 // copy acc to vreg[128]
v_accvgpr_read_b32 v[vgprValuC+73], acc144 // copy acc to vreg[129]
v_accvgpr_read_b32 v[vgprValuC+74], acc160 // copy acc to vreg[130]
v_accvgpr_read_b32 v[vgprValuC+75], acc176 // copy acc to vreg[131]
v_accvgpr_read_b32 v[vgprValuC+80], acc192 // copy acc to vreg[132]
v_accvgpr_read_b32 v[vgprValuC+81], acc208 // copy acc to vreg[133]
v_accvgpr_read_b32 v[vgprValuC+82], acc224 // copy acc to vreg[134]
v_accvgpr_read_b32 v[vgprValuC+83], acc240 // copy acc to vreg[135]
v_accvgpr_read_b32 v[vgprValuC+88], acc129 // copy acc to vreg[136]
v_accvgpr_read_b32 v[vgprValuC+89], acc145 // copy acc to vreg[137]
v_accvgpr_read_b32 v[vgprValuC+90], acc161 // copy acc to vreg[138]
v_accvgpr_read_b32 v[vgprValuC+91], acc177 // copy acc to vreg[139]
v_accvgpr_read_b32 v[vgprValuC+96], acc193 // copy acc to vreg[140]
v_accvgpr_read_b32 v[vgprValuC+97], acc209 // copy acc to vreg[141]
v_accvgpr_read_b32 v[vgprValuC+98], acc225 // copy acc to vreg[142]
v_accvgpr_read_b32 v[vgprValuC+99], acc241 // copy acc to vreg[143]
v_accvgpr_read_b32 v[vgprValuC+104], acc130 // copy acc to vreg[144]
v_accvgpr_read_b32 v[vgprValuC+105], acc146 // copy acc to vreg[145]
v_accvgpr_read_b32 v[vgprValuC+106], acc162 // copy acc to vreg[146]
v_accvgpr_read_b32 v[vgprValuC+107], acc178 // copy acc to vreg[147]
v_accvgpr_read_b32 v[vgprValuC+116], acc194 // copy acc to vreg[148]
v_accvgpr_read_b32 v[vgprValuC+117], acc210 // copy acc to vreg[149]
v_accvgpr_read_b32 v[vgprValuC+118], acc226 // copy acc to vreg[150]
v_accvgpr_read_b32 v[vgprValuC+119], acc242 // copy acc to vreg[151]
v_accvgpr_read_b32 v[vgprValuC+124], acc131 // copy acc to vreg[152]
v_accvgpr_read_b32 v[vgprValuC+125], acc147 // copy acc to vreg[153]
v_accvgpr_read_b32 v[vgprValuC+126], acc163 // copy acc to vreg[154]
v_accvgpr_read_b32 v[vgprValuC+127], acc179 // copy acc to vreg[155]
v_accvgpr_read_b32 v[vgprValuC+132], acc195 // copy acc to vreg[156]
v_accvgpr_read_b32 v[vgprValuC+133], acc211 // copy acc to vreg[157]
v_accvgpr_read_b32 v[vgprValuC+134], acc227 // copy acc to vreg[158]
v_accvgpr_read_b32 v[vgprValuC+135], acc243 // copy acc to vreg[159]
v_accvgpr_read_b32 v[vgprValuC+140], acc132 // copy acc to vreg[160]
v_accvgpr_read_b32 v[vgprValuC+141], acc148 // copy acc to vreg[161]
v_accvgpr_read_b32 v[vgprValuC+142], acc164 // copy acc to vreg[162]
v_accvgpr_read_b32 v[vgprValuC+143], acc180 // copy acc to vreg[163]
v_accvgpr_read_b32 v[vgprValuC+152], acc196 // copy acc to vreg[164]
v_accvgpr_read_b32 v[vgprValuC+153], acc212 // copy acc to vreg[165]
v_accvgpr_read_b32 v[vgprValuC+154], acc228 // copy acc to vreg[166]
v_accvgpr_read_b32 v[vgprValuC+155], acc244 // copy acc to vreg[167]
v_accvgpr_read_b32 v[vgprValuC+160], acc133 // copy acc to vreg[168]
v_accvgpr_read_b32 v[vgprValuC+161], acc149 // copy acc to vreg[169]
v_accvgpr_read_b32 v[vgprValuC+162], acc165 // copy acc to vreg[170]
v_accvgpr_read_b32 v[vgprValuC+163], acc181 // copy acc to vreg[171]
v_accvgpr_read_b32 v[vgprValuC+168], acc197 // copy acc to vreg[172]
v_accvgpr_read_b32 v[vgprValuC+169], acc213 // copy acc to vreg[173]
v_accvgpr_read_b32 v[vgprValuC+170], acc229 // copy acc to vreg[174]
v_accvgpr_read_b32 v[vgprValuC+171], acc245 // copy acc to vreg[175]
v_accvgpr_read_b32 v[vgprValuC+176], acc134 // copy acc to vreg[176]
v_accvgpr_read_b32 v[vgprValuC+177], acc150 // copy acc to vreg[177]
v_accvgpr_read_b32 v[vgprValuC+178], acc166 // copy acc to vreg[178]
v_accvgpr_read_b32 v[vgprValuC+179], acc182 // copy acc to vreg[179]
v_accvgpr_read_b32 v[vgprValuC+188], acc198 // copy acc to vreg[180]
v_accvgpr_read_b32 v[vgprValuC+189], acc214 // copy acc to vreg[181]
v_accvgpr_read_b32 v[vgprValuC+190], acc230 // copy acc to vreg[182]
v_accvgpr_read_b32 v[vgprValuC+191], acc246 // copy acc to vreg[183]
v_accvgpr_read_b32 v[vgprValuC+196], acc135 // copy acc to vreg[184]
v_accvgpr_read_b32 v[vgprValuC+197], acc151 // copy acc to vreg[185]
v_accvgpr_read_b32 v[vgprValuC+198], acc167 // copy acc to vreg[186]
v_accvgpr_read_b32 v[vgprValuC+199], acc183 // copy acc to vreg[187]
v_accvgpr_read_b32 v[vgprValuC+204], acc199 // copy acc to vreg[188]
v_accvgpr_read_b32 v[vgprValuC+205], acc215 // copy acc to vreg[189]
v_accvgpr_read_b32 v[vgprValuC+206], acc231 // copy acc to vreg[190]
v_accvgpr_read_b32 v[vgprValuC+207], acc247 // copy acc to vreg[191]
v_accvgpr_read_b32 v[vgprValuC+212], acc136 // copy acc to vreg[192]
v_accvgpr_read_b32 v[vgprValuC+213], acc152 // copy acc to vreg[193]
v_accvgpr_read_b32 v[vgprValuC+214], acc168 // copy acc to vreg[194]
v_accvgpr_read_b32 v[vgprValuC+215], acc184 // copy acc to vreg[195]
v_accvgpr_read_b32 v[vgprValuC+224], acc200 // copy acc to vreg[196]
v_accvgpr_read_b32 v[vgprValuC+225], acc216 // copy acc to vreg[197]
v_accvgpr_read_b32 v[vgprValuC+226], acc232 // copy acc to vreg[198]
v_accvgpr_read_b32 v[vgprValuC+227], acc248 // copy acc to vreg[199]
v_accvgpr_read_b32 v[vgprValuC+232], acc137 // copy acc to vreg[200]
v_accvgpr_read_b32 v[vgprValuC+233], acc153 // copy acc to vreg[201]
v_accvgpr_read_b32 v[vgprValuC+234], acc169 // copy acc to vreg[202]
v_accvgpr_read_b32 v[vgprValuC+235], acc185 // copy acc to vreg[203]
v_accvgpr_read_b32 v[vgprValuC+240], acc201 // copy acc to vreg[204]
v_accvgpr_read_b32 v[vgprValuC+241], acc217 // copy acc to vreg[205]
v_accvgpr_read_b32 v[vgprValuC+242], acc233 // copy acc to vreg[206]
v_accvgpr_read_b32 v[vgprValuC+243], acc249 // copy acc to vreg[207]
s_nop 1                                            // 2 wait states required before reading vgpr

/* rC *= alpha batchElements=[(3, 0, 2, 0), (3, 0, 3, 0), (3, 0, 4, 0), (3, 0, 5, 0), (3, 0, 6, 0), (3, 0, 7, 0), (4, 0, 0, 0), (4, 0, 1, 0), (4, 0, 2, 0), (4, 0, 3, 0), (4, 0, 4, 0), (4, 0, 5, 0), (4, 0, 6, 0), (4, 0, 7, 0), (5, 0, 0, 0), (5, 0, 1, 0), (5, 0, 2, 0), (5, 0, 3, 0), (5, 0, 4, 0), (5, 0, 5, 0), (5, 0, 6, 0), (5, 0, 7, 0), (6, 0, 0, 0), (6, 0, 1, 0), (6, 0, 2, 0), (6, 0, 3, 0)] */
v_mul_f32 v[vgprValuC+12], s[sgprAlpha], v[vgprValuC+12] // *= alpha
v_mul_f32 v[vgprValuC+13], s[sgprAlpha], v[vgprValuC+13] // *= alpha
	;; [unrolled: 1-line block ×104, first 2 shown]
s_waitcnt vmcnt(0)                                 // wait C

/* apply mask, calc new C and issue writes */
_v_mac_f32 v[vgprValuC+12], v8, s[sgprBeta]        // finalSum = sum*alpha + C*beta
_v_mac_f32 v[vgprValuC+13], v9, s[sgprBeta]        // finalSum = sum*alpha + C*beta
_v_mac_f32 v[vgprValuC+14], v10, s[sgprBeta]       // finalSum = sum*alpha + C*beta
_v_mac_f32 v[vgprValuC+15], v11, s[sgprBeta]       // finalSum = sum*alpha + C*beta
_buffer_store_b128 v[12:15], v6, s[sgprSrdD:sgprSrdD+3], 0, offen, offset:0 // store D
_v_mac_f32 v[vgprValuC+20], v16, s[sgprBeta]       // finalSum = sum*alpha + C*beta
_v_mac_f32 v[vgprValuC+21], v17, s[sgprBeta]       // finalSum = sum*alpha + C*beta
_v_mac_f32 v[vgprValuC+22], v18, s[sgprBeta]       // finalSum = sum*alpha + C*beta
_v_mac_f32 v[vgprValuC+23], v19, s[sgprBeta]       // finalSum = sum*alpha + C*beta
_buffer_store_b128 v[20:23], v7, s[sgprSrdD:sgprSrdD+3], 0, offen, offset:0 // store D
_v_mac_f32 v[vgprValuC+32], v28, s[sgprBeta]       // finalSum = sum*alpha + C*beta
_v_mac_f32 v[vgprValuC+33], v29, s[sgprBeta]       // finalSum = sum*alpha + C*beta
	;; [unrolled: 5-line block ×9, first 2 shown]
_v_mac_f32 v[vgprValuC+98], v94, s[sgprBeta]       // finalSum = sum*alpha + C*beta
_v_mac_f32 v[vgprValuC+99], v95, s[sgprBeta]       // finalSum = sum*alpha + C*beta
_buffer_store_b128 v[96:99], v58, s[sgprSrdD:sgprSrdD+3], 0, offen, offset:0 // store D
_v_mac_f32 v[vgprValuC+104], v100, s[sgprBeta]     // finalSum = sum*alpha + C*beta
_v_mac_f32 v[vgprValuC+105], v101, s[sgprBeta]     // finalSum = sum*alpha + C*beta
_v_mac_f32 v[vgprValuC+106], v102, s[sgprBeta]     // finalSum = sum*alpha + C*beta
_v_mac_f32 v[vgprValuC+107], v103, s[sgprBeta]     // finalSum = sum*alpha + C*beta
_buffer_store_b128 v[104:107], v59, s[sgprSrdD:sgprSrdD+3], 0, offen, offset:0 // store D
_v_mac_f32 v[vgprValuC+116], v112, s[sgprBeta]     // finalSum = sum*alpha + C*beta
_v_mac_f32 v[vgprValuC+117], v113, s[sgprBeta]     // finalSum = sum*alpha + C*beta
_v_mac_f32 v[vgprValuC+118], v114, s[sgprBeta]     // finalSum = sum*alpha + C*beta
_v_mac_f32 v[vgprValuC+119], v115, s[sgprBeta]     // finalSum = sum*alpha + C*beta
_buffer_store_b128 v[116:119], v108, s[sgprSrdD:sgprSrdD+3], 0, offen, offset:0 // store D
_v_mac_f32 v[vgprValuC+124], v120, s[sgprBeta]     // finalSum = sum*alpha + C*beta
_v_mac_f32 v[vgprValuC+125], v121, s[sgprBeta]     // finalSum = sum*alpha + C*beta
_v_mac_f32 v[vgprValuC+126], v122, s[sgprBeta]     // finalSum = sum*alpha + C*beta
_v_mac_f32 v[vgprValuC+127], v123, s[sgprBeta]     // finalSum = sum*alpha + C*beta
_buffer_store_b128 v[124:127], v109, s[sgprSrdD:sgprSrdD+3], 0, offen, offset:0 // store D
_v_mac_f32 v[vgprValuC+132], v128, s[sgprBeta]     // finalSum = sum*alpha + C*beta
_v_mac_f32 v[vgprValuC+133], v129, s[sgprBeta]     // finalSum = sum*alpha + C*beta
_v_mac_f32 v[vgprValuC+134], v130, s[sgprBeta]     // finalSum = sum*alpha + C*beta
_v_mac_f32 v[vgprValuC+135], v131, s[sgprBeta]     // finalSum = sum*alpha + C*beta
_buffer_store_b128 v[132:135], v110, s[sgprSrdD:sgprSrdD+3], 0, offen, offset:0 // store D
_v_mac_f32 v[vgprValuC+140], v136, s[sgprBeta]     // finalSum = sum*alpha + C*beta
_v_mac_f32 v[vgprValuC+141], v137, s[sgprBeta]     // finalSum = sum*alpha + C*beta
_v_mac_f32 v[vgprValuC+142], v138, s[sgprBeta]     // finalSum = sum*alpha + C*beta
_v_mac_f32 v[vgprValuC+143], v139, s[sgprBeta]     // finalSum = sum*alpha + C*beta
_buffer_store_b128 v[140:143], v111, s[sgprSrdD:sgprSrdD+3], 0, offen, offset:0 // store D
_v_mac_f32 v[vgprValuC+152], v148, s[sgprBeta]     // finalSum = sum*alpha + C*beta
_v_mac_f32 v[vgprValuC+153], v149, s[sgprBeta]     // finalSum = sum*alpha + C*beta
_v_mac_f32 v[vgprValuC+154], v150, s[sgprBeta]     // finalSum = sum*alpha + C*beta
_v_mac_f32 v[vgprValuC+155], v151, s[sgprBeta]     // finalSum = sum*alpha + C*beta
_buffer_store_b128 v[152:155], v144, s[sgprSrdD:sgprSrdD+3], 0, offen, offset:0 // store D
_v_mac_f32 v[vgprValuC+160], v156, s[sgprBeta]     // finalSum = sum*alpha + C*beta
_v_mac_f32 v[vgprValuC+161], v157, s[sgprBeta]     // finalSum = sum*alpha + C*beta
_v_mac_f32 v[vgprValuC+162], v158, s[sgprBeta]     // finalSum = sum*alpha + C*beta
_v_mac_f32 v[vgprValuC+163], v159, s[sgprBeta]     // finalSum = sum*alpha + C*beta
_buffer_store_b128 v[160:163], v145, s[sgprSrdD:sgprSrdD+3], 0, offen, offset:0 // store D
_v_mac_f32 v[vgprValuC+168], v164, s[sgprBeta]     // finalSum = sum*alpha + C*beta
_v_mac_f32 v[vgprValuC+169], v165, s[sgprBeta]     // finalSum = sum*alpha + C*beta
_v_mac_f32 v[vgprValuC+170], v166, s[sgprBeta]     // finalSum = sum*alpha + C*beta
_v_mac_f32 v[vgprValuC+171], v167, s[sgprBeta]     // finalSum = sum*alpha + C*beta
_buffer_store_b128 v[168:171], v146, s[sgprSrdD:sgprSrdD+3], 0, offen, offset:0 // store D
_v_mac_f32 v[vgprValuC+176], v172, s[sgprBeta]     // finalSum = sum*alpha + C*beta
_v_mac_f32 v[vgprValuC+177], v173, s[sgprBeta]     // finalSum = sum*alpha + C*beta
_v_mac_f32 v[vgprValuC+178], v174, s[sgprBeta]     // finalSum = sum*alpha + C*beta
_v_mac_f32 v[vgprValuC+179], v175, s[sgprBeta]     // finalSum = sum*alpha + C*beta
_buffer_store_b128 v[176:179], v147, s[sgprSrdD:sgprSrdD+3], 0, offen, offset:0 // store D
_v_mac_f32 v[vgprValuC+188], v184, s[sgprBeta]     // finalSum = sum*alpha + C*beta
_v_mac_f32 v[vgprValuC+189], v185, s[sgprBeta]     // finalSum = sum*alpha + C*beta
_v_mac_f32 v[vgprValuC+190], v186, s[sgprBeta]     // finalSum = sum*alpha + C*beta
_v_mac_f32 v[vgprValuC+191], v187, s[sgprBeta]     // finalSum = sum*alpha + C*beta
_buffer_store_b128 v[188:191], v180, s[sgprSrdD:sgprSrdD+3], 0, offen, offset:0 // store D
_v_mac_f32 v[vgprValuC+196], v192, s[sgprBeta]     // finalSum = sum*alpha + C*beta
_v_mac_f32 v[vgprValuC+197], v193, s[sgprBeta]     // finalSum = sum*alpha + C*beta
_v_mac_f32 v[vgprValuC+198], v194, s[sgprBeta]     // finalSum = sum*alpha + C*beta
_v_mac_f32 v[vgprValuC+199], v195, s[sgprBeta]     // finalSum = sum*alpha + C*beta
_buffer_store_b128 v[196:199], v181, s[sgprSrdD:sgprSrdD+3], 0, offen, offset:0 // store D
_v_mac_f32 v[vgprValuC+204], v200, s[sgprBeta]     // finalSum = sum*alpha + C*beta
_v_mac_f32 v[vgprValuC+205], v201, s[sgprBeta]     // finalSum = sum*alpha + C*beta
_v_mac_f32 v[vgprValuC+206], v202, s[sgprBeta]     // finalSum = sum*alpha + C*beta
_v_mac_f32 v[vgprValuC+207], v203, s[sgprBeta]     // finalSum = sum*alpha + C*beta
_buffer_store_b128 v[204:207], v182, s[sgprSrdD:sgprSrdD+3], 0, offen, offset:0 // store D
_v_mac_f32 v[vgprValuC+212], v208, s[sgprBeta]     // finalSum = sum*alpha + C*beta
_v_mac_f32 v[vgprValuC+213], v209, s[sgprBeta]     // finalSum = sum*alpha + C*beta
_v_mac_f32 v[vgprValuC+214], v210, s[sgprBeta]     // finalSum = sum*alpha + C*beta
_v_mac_f32 v[vgprValuC+215], v211, s[sgprBeta]     // finalSum = sum*alpha + C*beta
_buffer_store_b128 v[212:215], v183, s[sgprSrdD:sgprSrdD+3], 0, offen, offset:0 // store D
_v_mac_f32 v[vgprValuC+224], v220, s[sgprBeta]     // finalSum = sum*alpha + C*beta
_v_mac_f32 v[vgprValuC+225], v221, s[sgprBeta]     // finalSum = sum*alpha + C*beta
_v_mac_f32 v[vgprValuC+226], v222, s[sgprBeta]     // finalSum = sum*alpha + C*beta
_v_mac_f32 v[vgprValuC+227], v223, s[sgprBeta]     // finalSum = sum*alpha + C*beta
_buffer_store_b128 v[224:227], v216, s[sgprSrdD:sgprSrdD+3], 0, offen, offset:0 // store D
_v_mac_f32 v[vgprValuC+232], v228, s[sgprBeta]     // finalSum = sum*alpha + C*beta
_v_mac_f32 v[vgprValuC+233], v229, s[sgprBeta]     // finalSum = sum*alpha + C*beta
_v_mac_f32 v[vgprValuC+234], v230, s[sgprBeta]     // finalSum = sum*alpha + C*beta
_v_mac_f32 v[vgprValuC+235], v231, s[sgprBeta]     // finalSum = sum*alpha + C*beta
_buffer_store_b128 v[232:235], v217, s[sgprSrdD:sgprSrdD+3], 0, offen, offset:0 // store D
_v_mac_f32 v[vgprValuC+240], v236, s[sgprBeta]     // finalSum = sum*alpha + C*beta
_v_mac_f32 v[vgprValuC+241], v237, s[sgprBeta]     // finalSum = sum*alpha + C*beta
_v_mac_f32 v[vgprValuC+242], v238, s[sgprBeta]     // finalSum = sum*alpha + C*beta
_v_mac_f32 v[vgprValuC+243], v239, s[sgprBeta]     // finalSum = sum*alpha + C*beta
_buffer_store_b128 v[240:243], v218, s[sgprSrdD:sgprSrdD+3], 0, offen, offset:0 // store D
s_nop 0                                            // 1 wait state required when next inst writes vgprs held by previous dwordx4 store inst
/* optSingleColVgpr=0 optSharedColVgpr=0 optSGPRUsage=BufferLoad_Edge_Mask optSrdIncForRow=0 */

/******************************************/
/* Global Write Alpha Beta Edge Batch #2 (d1,d0,vc1,vc0) = */
/*    (6,0,4,0:vw4); (6,0,5,0:vw4); (6,0,6,0:vw4); (6,0,7,0:vw4); (7,0,0,0:vw4); (7,0,1,0:vw4); (7,0,2,0:vw4); (7,0,3,0:vw4); (7,0,4,0:vw4); (7,0,5,0:vw4); (7,0,6,0:vw4); (7,0,7,0:vw4) */
/******************************************/

/* calc coords, apply mask, and issue loads (if necessary) */
/* (d1,vc1,d0,vc0)=(6,4,0,0) */
_v_add_co_u32 v1, vcc, v1, 1                       // coord1.1: coord1Vgpr += d1*sg1*VW + vc1

/* Fix for UseInitialStridesCD, emitAddressSetupCode */
_v_add_u32 v2, v2, s[sgprStrideC1J]                // ROWINC- Move cinRowPtr to next row
_v_add_u32 v3, v3, s[sgprStrideD1J]                // Move coutRowPtr to next row
v_cmp_lt_u32 s[54:55], v0, s[sgprSizeI]            // coord0 < size0
v_cmp_lt_u32 s[58:59], v1, s[sgprSizeJ]            // coord1 < size1
s_and_b64 s[58:59], s[54:55], s[58:59]             // in0 && in1
_v_add_lshl_u32 v6, v2, v0, 0x2                    // scaleToBpe: accumulate d0 lower and *= bpe into Cin addr
v_cndmask_b32 v6, -1, v6, s[58:59]                 // LDC clip if OOB. offset
_buffer_load_b128 v[8:11], v6, s[sgprSrdC:sgprSrdC+3], 0, offen offset:0 // load C for beta calc
_v_add_lshl_u32 v6, v3, v0, 0x2                    // scaleToBpe: accumulate d0 lower and *= bpe into Cin addr
v_cndmask_b32 v6, -1, v6, s[58:59]                 // LDD clip if OOB. offset
/* (d1,vc1,d0,vc0)=(6,5,0,0) */
_v_add_co_u32 v1, vcc, v1, 1                       // coord1.1: coord1Vgpr += d1*sg1*VW + vc1

/* Fix for UseInitialStridesCD, emitAddressSetupCode */
_v_add_u32 v2, v2, s[sgprStrideC1J]                // ROWINC- Move cinRowPtr to next row
_v_add_u32 v3, v3, s[sgprStrideD1J]                // Move coutRowPtr to next row
v_cmp_lt_u32 s[54:55], v0, s[sgprSizeI]            // coord0 < size0
v_cmp_lt_u32 s[58:59], v1, s[sgprSizeJ]            // coord1 < size1
s_and_b64 s[58:59], s[54:55], s[58:59]             // in0 && in1
_v_add_lshl_u32 v7, v2, v0, 0x2                    // scaleToBpe: accumulate d0 lower and *= bpe into Cin addr
v_cndmask_b32 v7, -1, v7, s[58:59]                 // LDC clip if OOB. offset
_buffer_load_b128 v[16:19], v7, s[sgprSrdC:sgprSrdC+3], 0, offen offset:0 // load C for beta calc
_v_add_lshl_u32 v7, v3, v0, 0x2                    // scaleToBpe: accumulate d0 lower and *= bpe into Cin addr
v_cndmask_b32 v7, -1, v7, s[58:59]                 // LDD clip if OOB. offset
/* (d1,vc1,d0,vc0)=(6,6,0,0) */
_v_add_co_u32 v1, vcc, v1, 1                       // coord1.1: coord1Vgpr += d1*sg1*VW + vc1

/* Fix for UseInitialStridesCD, emitAddressSetupCode */
_v_add_u32 v2, v2, s[sgprStrideC1J]                // ROWINC- Move cinRowPtr to next row
_v_add_u32 v3, v3, s[sgprStrideD1J]                // Move coutRowPtr to next row
v_cmp_lt_u32 s[54:55], v0, s[sgprSizeI]            // coord0 < size0
v_cmp_lt_u32 s[58:59], v1, s[sgprSizeJ]            // coord1 < size1
s_and_b64 s[58:59], s[54:55], s[58:59]             // in0 && in1
_v_add_lshl_u32 v24, v2, v0, 0x2                   // scaleToBpe: accumulate d0 lower and *= bpe into Cin addr
v_cndmask_b32 v24, -1, v24, s[58:59]               // LDC clip if OOB. offset
_buffer_load_b128 v[28:31], v24, s[sgprSrdC:sgprSrdC+3], 0, offen offset:0 // load C for beta calc
_v_add_lshl_u32 v24, v3, v0, 0x2                   // scaleToBpe: accumulate d0 lower and *= bpe into Cin addr
v_cndmask_b32 v24, -1, v24, s[58:59]               // LDD clip if OOB. offset
/* (d1,vc1,d0,vc0)=(6,7,0,0) */
_v_add_co_u32 v1, vcc, v1, 1                       // coord1.1: coord1Vgpr += d1*sg1*VW + vc1

/* Fix for UseInitialStridesCD, emitAddressSetupCode */
_v_add_u32 v2, v2, s[sgprStrideC1J]                // ROWINC- Move cinRowPtr to next row
_v_add_u32 v3, v3, s[sgprStrideD1J]                // Move coutRowPtr to next row
v_cmp_lt_u32 s[54:55], v0, s[sgprSizeI]            // coord0 < size0
v_cmp_lt_u32 s[58:59], v1, s[sgprSizeJ]            // coord1 < size1
s_and_b64 s[58:59], s[54:55], s[58:59]             // in0 && in1
_v_add_lshl_u32 v25, v2, v0, 0x2                   // scaleToBpe: accumulate d0 lower and *= bpe into Cin addr
v_cndmask_b32 v25, -1, v25, s[58:59]               // LDC clip if OOB. offset
_buffer_load_b128 v[36:39], v25, s[sgprSrdC:sgprSrdC+3], 0, offen offset:0 // load C for beta calc
_v_add_lshl_u32 v25, v3, v0, 0x2                   // scaleToBpe: accumulate d0 lower and *= bpe into Cin addr
v_cndmask_b32 v25, -1, v25, s[58:59]               // LDD clip if OOB. offset
/* (d1,vc1,d0,vc0)=(7,0,0,0) */
_v_add_co_u32 v1, vcc, v1, 9                       // coord1.1: coord1Vgpr += d1*sg1*VW + vc1

/* Fix for UseInitialStridesCD, emitAddressSetupCode */
s_mul_i32 s54, s[sgprStrideC1J], 9                 // scale stride
_v_add_u32 v2, v2, s54                             // ROWINC- Move cinRowPtr to next row
s_mul_i32 s54, s[sgprStrideD1J], 9                 // scale stride
_v_add_u32 v3, v3, s54                             // Move coutRowPtr to next row
v_cmp_lt_u32 s[54:55], v0, s[sgprSizeI]            // coord0 < size0
v_cmp_lt_u32 s[58:59], v1, s[sgprSizeJ]            // coord1 < size1
s_and_b64 s[58:59], s[54:55], s[58:59]             // in0 && in1
_v_add_lshl_u32 v26, v2, v0, 0x2                   // scaleToBpe: accumulate d0 lower and *= bpe into Cin addr
v_cndmask_b32 v26, -1, v26, s[58:59]               // LDC clip if OOB. offset
_buffer_load_b128 v[44:47], v26, s[sgprSrdC:sgprSrdC+3], 0, offen offset:0 // load C for beta calc
_v_add_lshl_u32 v26, v3, v0, 0x2                   // scaleToBpe: accumulate d0 lower and *= bpe into Cin addr
v_cndmask_b32 v26, -1, v26, s[58:59]               // LDD clip if OOB. offset
/* (d1,vc1,d0,vc0)=(7,1,0,0) */
_v_add_co_u32 v1, vcc, v1, 1                       // coord1.1: coord1Vgpr += d1*sg1*VW + vc1

/* Fix for UseInitialStridesCD, emitAddressSetupCode */
_v_add_u32 v2, v2, s[sgprStrideC1J]                // ROWINC- Move cinRowPtr to next row
_v_add_u32 v3, v3, s[sgprStrideD1J]                // Move coutRowPtr to next row
v_cmp_lt_u32 s[54:55], v0, s[sgprSizeI]            // coord0 < size0
v_cmp_lt_u32 s[58:59], v1, s[sgprSizeJ]            // coord1 < size1
s_and_b64 s[58:59], s[54:55], s[58:59]             // in0 && in1
_v_add_lshl_u32 v27, v2, v0, 0x2                   // scaleToBpe: accumulate d0 lower and *= bpe into Cin addr
v_cndmask_b32 v27, -1, v27, s[58:59]               // LDC clip if OOB. offset
_buffer_load_b128 v[60:63], v27, s[sgprSrdC:sgprSrdC+3], 0, offen offset:0 // load C for beta calc
_v_add_lshl_u32 v27, v3, v0, 0x2                   // scaleToBpe: accumulate d0 lower and *= bpe into Cin addr
v_cndmask_b32 v27, -1, v27, s[58:59]               // LDD clip if OOB. offset
/* (d1,vc1,d0,vc0)=(7,2,0,0) */
_v_add_co_u32 v1, vcc, v1, 1                       // coord1.1: coord1Vgpr += d1*sg1*VW + vc1

/* Fix for UseInitialStridesCD, emitAddressSetupCode */
_v_add_u32 v2, v2, s[sgprStrideC1J]                // ROWINC- Move cinRowPtr to next row
_v_add_u32 v3, v3, s[sgprStrideD1J]                // Move coutRowPtr to next row
	;; [unrolled: 14-line block ×7, first 2 shown]
v_cmp_lt_u32 s[54:55], v0, s[sgprSizeI]            // coord0 < size0
v_cmp_lt_u32 s[58:59], v1, s[sgprSizeJ]            // coord1 < size1
s_and_b64 s[58:59], s[54:55], s[58:59]             // in0 && in1
_v_add_lshl_u32 v108, v2, v0, 0x2                  // scaleToBpe: accumulate d0 lower and *= bpe into Cin addr
v_cndmask_b32 v108, -1, v108, s[58:59]             // LDC clip if OOB. offset
_buffer_load_b128 v[112:115], v108, s[sgprSrdC:sgprSrdC+3], 0, offen offset:0 // load C for beta calc
_v_add_lshl_u32 v108, v3, v0, 0x2                  // scaleToBpe: accumulate d0 lower and *= bpe into Cin addr
v_cndmask_b32 v108, -1, v108, s[58:59]             // LDD clip if OOB. offset
v_accvgpr_read_b32 v[vgprValuC+12], acc138 // copy acc to vreg[208]
v_accvgpr_read_b32 v[vgprValuC+13], acc154 // copy acc to vreg[209]
v_accvgpr_read_b32 v[vgprValuC+14], acc170 // copy acc to vreg[210]
v_accvgpr_read_b32 v[vgprValuC+15], acc186 // copy acc to vreg[211]
v_accvgpr_read_b32 v[vgprValuC+20], acc202 // copy acc to vreg[212]
v_accvgpr_read_b32 v[vgprValuC+21], acc218 // copy acc to vreg[213]
v_accvgpr_read_b32 v[vgprValuC+22], acc234 // copy acc to vreg[214]
v_accvgpr_read_b32 v[vgprValuC+23], acc250 // copy acc to vreg[215]
v_accvgpr_read_b32 v[vgprValuC+32], acc139 // copy acc to vreg[216]
v_accvgpr_read_b32 v[vgprValuC+33], acc155 // copy acc to vreg[217]
v_accvgpr_read_b32 v[vgprValuC+34], acc171 // copy acc to vreg[218]
v_accvgpr_read_b32 v[vgprValuC+35], acc187 // copy acc to vreg[219]
v_accvgpr_read_b32 v[vgprValuC+40], acc203 // copy acc to vreg[220]
v_accvgpr_read_b32 v[vgprValuC+41], acc219 // copy acc to vreg[221]
v_accvgpr_read_b32 v[vgprValuC+42], acc235 // copy acc to vreg[222]
v_accvgpr_read_b32 v[vgprValuC+43], acc251 // copy acc to vreg[223]
v_accvgpr_read_b32 v[vgprValuC+48], acc140 // copy acc to vreg[224]
v_accvgpr_read_b32 v[vgprValuC+49], acc156 // copy acc to vreg[225]
v_accvgpr_read_b32 v[vgprValuC+50], acc172 // copy acc to vreg[226]
v_accvgpr_read_b32 v[vgprValuC+51], acc188 // copy acc to vreg[227]
v_accvgpr_read_b32 v[vgprValuC+64], acc204 // copy acc to vreg[228]
v_accvgpr_read_b32 v[vgprValuC+65], acc220 // copy acc to vreg[229]
v_accvgpr_read_b32 v[vgprValuC+66], acc236 // copy acc to vreg[230]
v_accvgpr_read_b32 v[vgprValuC+67], acc252 // copy acc to vreg[231]
v_accvgpr_read_b32 v[vgprValuC+72], acc141 // copy acc to vreg[232]
v_accvgpr_read_b32 v[vgprValuC+73], acc157 // copy acc to vreg[233]
v_accvgpr_read_b32 v[vgprValuC+74], acc173 // copy acc to vreg[234]
v_accvgpr_read_b32 v[vgprValuC+75], acc189 // copy acc to vreg[235]
v_accvgpr_read_b32 v[vgprValuC+80], acc205 // copy acc to vreg[236]
v_accvgpr_read_b32 v[vgprValuC+81], acc221 // copy acc to vreg[237]
v_accvgpr_read_b32 v[vgprValuC+82], acc237 // copy acc to vreg[238]
v_accvgpr_read_b32 v[vgprValuC+83], acc253 // copy acc to vreg[239]
v_accvgpr_read_b32 v[vgprValuC+88], acc142 // copy acc to vreg[240]
v_accvgpr_read_b32 v[vgprValuC+89], acc158 // copy acc to vreg[241]
v_accvgpr_read_b32 v[vgprValuC+90], acc174 // copy acc to vreg[242]
v_accvgpr_read_b32 v[vgprValuC+91], acc190 // copy acc to vreg[243]
v_accvgpr_read_b32 v[vgprValuC+96], acc206 // copy acc to vreg[244]
v_accvgpr_read_b32 v[vgprValuC+97], acc222 // copy acc to vreg[245]
v_accvgpr_read_b32 v[vgprValuC+98], acc238 // copy acc to vreg[246]
v_accvgpr_read_b32 v[vgprValuC+99], acc254 // copy acc to vreg[247]
v_accvgpr_read_b32 v[vgprValuC+104], acc143 // copy acc to vreg[248]
v_accvgpr_read_b32 v[vgprValuC+105], acc159 // copy acc to vreg[249]
v_accvgpr_read_b32 v[vgprValuC+106], acc175 // copy acc to vreg[250]
v_accvgpr_read_b32 v[vgprValuC+107], acc191 // copy acc to vreg[251]
v_accvgpr_read_b32 v[vgprValuC+116], acc207 // copy acc to vreg[252]
v_accvgpr_read_b32 v[vgprValuC+117], acc223 // copy acc to vreg[253]
v_accvgpr_read_b32 v[vgprValuC+118], acc239 // copy acc to vreg[254]
v_accvgpr_read_b32 v[vgprValuC+119], acc255 // copy acc to vreg[255]
s_nop 1                                            // 2 wait states required before reading vgpr

/* rC *= alpha batchElements=[(6, 0, 4, 0), (6, 0, 5, 0), (6, 0, 6, 0), (6, 0, 7, 0), (7, 0, 0, 0), (7, 0, 1, 0), (7, 0, 2, 0), (7, 0, 3, 0), (7, 0, 4, 0), (7, 0, 5, 0), (7, 0, 6, 0), (7, 0, 7, 0)] */
v_mul_f32 v[vgprValuC+12], s[sgprAlpha], v[vgprValuC+12] // *= alpha
v_mul_f32 v[vgprValuC+13], s[sgprAlpha], v[vgprValuC+13] // *= alpha
	;; [unrolled: 1-line block ×48, first 2 shown]
s_waitcnt vmcnt(0)                                 // wait C

/* apply mask, calc new C and issue writes */
_v_mac_f32 v[vgprValuC+12], v8, s[sgprBeta]        // finalSum = sum*alpha + C*beta
_v_mac_f32 v[vgprValuC+13], v9, s[sgprBeta]        // finalSum = sum*alpha + C*beta
_v_mac_f32 v[vgprValuC+14], v10, s[sgprBeta]       // finalSum = sum*alpha + C*beta
_v_mac_f32 v[vgprValuC+15], v11, s[sgprBeta]       // finalSum = sum*alpha + C*beta
_buffer_store_b128 v[12:15], v6, s[sgprSrdD:sgprSrdD+3], 0, offen, offset:0 // store D
_v_mac_f32 v[vgprValuC+20], v16, s[sgprBeta]       // finalSum = sum*alpha + C*beta
_v_mac_f32 v[vgprValuC+21], v17, s[sgprBeta]       // finalSum = sum*alpha + C*beta
_v_mac_f32 v[vgprValuC+22], v18, s[sgprBeta]       // finalSum = sum*alpha + C*beta
_v_mac_f32 v[vgprValuC+23], v19, s[sgprBeta]       // finalSum = sum*alpha + C*beta
_buffer_store_b128 v[20:23], v7, s[sgprSrdD:sgprSrdD+3], 0, offen, offset:0 // store D
_v_mac_f32 v[vgprValuC+32], v28, s[sgprBeta]       // finalSum = sum*alpha + C*beta
_v_mac_f32 v[vgprValuC+33], v29, s[sgprBeta]       // finalSum = sum*alpha + C*beta
	;; [unrolled: 5-line block ×9, first 2 shown]
_v_mac_f32 v[vgprValuC+98], v94, s[sgprBeta]       // finalSum = sum*alpha + C*beta
_v_mac_f32 v[vgprValuC+99], v95, s[sgprBeta]       // finalSum = sum*alpha + C*beta
_buffer_store_b128 v[96:99], v58, s[sgprSrdD:sgprSrdD+3], 0, offen, offset:0 // store D
_v_mac_f32 v[vgprValuC+104], v100, s[sgprBeta]     // finalSum = sum*alpha + C*beta
_v_mac_f32 v[vgprValuC+105], v101, s[sgprBeta]     // finalSum = sum*alpha + C*beta
	;; [unrolled: 1-line block ×4, first 2 shown]
_buffer_store_b128 v[104:107], v59, s[sgprSrdD:sgprSrdD+3], 0, offen, offset:0 // store D
_v_mac_f32 v[vgprValuC+116], v112, s[sgprBeta]     // finalSum = sum*alpha + C*beta
_v_mac_f32 v[vgprValuC+117], v113, s[sgprBeta]     // finalSum = sum*alpha + C*beta
	;; [unrolled: 1-line block ×4, first 2 shown]
_buffer_store_b128 v[116:119], v108, s[sgprSrdD:sgprSrdD+3], 0, offen, offset:0 // store D
s_nop 0                                            // 1 wait state required when next inst writes vgprs held by previous dwordx4 store inst
s_branch label_GW_End_178                          // jump to end
label_GW_End_178:

label_0183:  /// KernelEnd
s_endpgm                                           // Kernel End

